;; amdgpu-corpus repo=ROCm/Tensile kind=harvested arch=n/a opt=n/a

/******************************************/
/* Function Prefix                        */
/******************************************/



/******************************************/
/* Begin Kernel                           */
/******************************************/

// Component.Signature.SignatureDefault
.amdgcn_target "amdgcn-amd-amdhsa--gfx942"
.text
.protected Cijk_Ailk_Bljk_CB_MT64x64x32_MI16x16x4x1_SN_1LDSB1_APM1_AF0EM1_AF1EM1_AMAS0_ASGT_ASLT1129_ASEM1_BL1_BS1_CLR0_DTVA0_DTVB0_ETB_EPS1_ELFLR0_EMLL0_FSSC10_FL0_GLVWA2_GLVWB1_GRCGA1_GRCGB1_GRVWn1_GSU1_GSUASB_GLS0_IU1_K1_LBSPPA0_LBSPPB256_LPA0_LPB1_LRVW1_MIAV1_MKFGSU256_NTA0_NTB0_NTC0_NTD0_NEPBS4_NLCA1_NLCB1_ONLL1_PK0_PGR2_PLR9_PKA0_SIA3_SS1_SU0_SUM0_SUS0_SPO0_SRVW0_SSO0_SVW1_TSGRA0_TSGRB0_TT1_64_TLDS1_UMLDSA0_UMLDSB1_USFGROn1_VAW1_VSn1_VW1_VWB1_VFLRP0_WSGRA0_WSGRB0_WG64_4_1_WGM1
.globl Cijk_Ailk_Bljk_CB_MT64x64x32_MI16x16x4x1_SN_1LDSB1_APM1_AF0EM1_AF1EM1_AMAS0_ASGT_ASLT1129_ASEM1_BL1_BS1_CLR0_DTVA0_DTVB0_ETB_EPS1_ELFLR0_EMLL0_FSSC10_FL0_GLVWA2_GLVWB1_GRCGA1_GRCGB1_GRVWn1_GSU1_GSUASB_GLS0_IU1_K1_LBSPPA0_LBSPPB256_LPA0_LPB1_LRVW1_MIAV1_MKFGSU256_NTA0_NTB0_NTC0_NTD0_NEPBS4_NLCA1_NLCB1_ONLL1_PK0_PGR2_PLR9_PKA0_SIA3_SS1_SU0_SUM0_SUS0_SPO0_SRVW0_SSO0_SVW1_TSGRA0_TSGRB0_TT1_64_TLDS1_UMLDSA0_UMLDSB1_USFGROn1_VAW1_VSn1_VW1_VWB1_VFLRP0_WSGRA0_WSGRB0_WG64_4_1_WGM1
.p2align 8
.type Cijk_Ailk_Bljk_CB_MT64x64x32_MI16x16x4x1_SN_1LDSB1_APM1_AF0EM1_AF1EM1_AMAS0_ASGT_ASLT1129_ASEM1_BL1_BS1_CLR0_DTVA0_DTVB0_ETB_EPS1_ELFLR0_EMLL0_FSSC10_FL0_GLVWA2_GLVWB1_GRCGA1_GRCGB1_GRVWn1_GSU1_GSUASB_GLS0_IU1_K1_LBSPPA0_LBSPPB256_LPA0_LPB1_LRVW1_MIAV1_MKFGSU256_NTA0_NTB0_NTC0_NTD0_NEPBS4_NLCA1_NLCB1_ONLL1_PK0_PGR2_PLR9_PKA0_SIA3_SS1_SU0_SUM0_SUS0_SPO0_SRVW0_SSO0_SVW1_TSGRA0_TSGRB0_TT1_64_TLDS1_UMLDSA0_UMLDSB1_USFGROn1_VAW1_VSn1_VW1_VWB1_VFLRP0_WSGRA0_WSGRB0_WG64_4_1_WGM1,@function
.section .rodata,#alloc
.p2align 6
.amdhsa_kernel Cijk_Ailk_Bljk_CB_MT64x64x32_MI16x16x4x1_SN_1LDSB1_APM1_AF0EM1_AF1EM1_AMAS0_ASGT_ASLT1129_ASEM1_BL1_BS1_CLR0_DTVA0_DTVB0_ETB_EPS1_ELFLR0_EMLL0_FSSC10_FL0_GLVWA2_GLVWB1_GRCGA1_GRCGB1_GRVWn1_GSU1_GSUASB_GLS0_IU1_K1_LBSPPA0_LBSPPB256_LPA0_LPB1_LRVW1_MIAV1_MKFGSU256_NTA0_NTB0_NTC0_NTD0_NEPBS4_NLCA1_NLCB1_ONLL1_PK0_PGR2_PLR9_PKA0_SIA3_SS1_SU0_SUM0_SUS0_SPO0_SRVW0_SSO0_SVW1_TSGRA0_TSGRB0_TT1_64_TLDS1_UMLDSA0_UMLDSB1_USFGROn1_VAW1_VSn1_VW1_VWB1_VFLRP0_WSGRA0_WSGRB0_WG64_4_1_WGM1
  .amdhsa_user_sgpr_kernarg_segment_ptr 1
  .amdhsa_user_sgpr_kernarg_preload_offset 0
  .amdhsa_user_sgpr_kernarg_preload_length 0
  .amdhsa_user_sgpr_count 2
  .amdhsa_accum_offset 256 // accvgpr offset
  .amdhsa_next_free_vgpr 256 // vgprs
  .amdhsa_next_free_sgpr 68 // sgprs
  .amdhsa_group_segment_fixed_size 33280 // lds bytes
  .amdhsa_private_segment_fixed_size 0
  .amdhsa_system_sgpr_workgroup_id_x 1
  .amdhsa_system_sgpr_workgroup_id_y 1
  .amdhsa_system_sgpr_workgroup_id_z 1
  .amdhsa_system_vgpr_workitem_id 0
  .amdhsa_float_denorm_mode_32 3
  .amdhsa_float_denorm_mode_16_64 3
.end_amdhsa_kernel
.text

/******************************************/
/* Optimizations and Config:              */
/******************************************/
/* ThreadTile= 4 x 4 */
/* SubGroup= 16 x 16 */
/* VectorWidthA=1 */
/* VectorWidthB=1 */
/* GlobalLoadVectorWidthA=2, GlobalLoadVectorWidthB=1 */
/* DirectToLdsA=False */
/* DirectToLdsB=False */
/* UseSgprForGRO=1 */
.amdgpu_metadata
---
amdhsa.version:
  - 1
  - 1
amdhsa.target: amdgcn-amd-amdhsa--gfx942
amdhsa.kernels:
  - .name: Cijk_Ailk_Bljk_CB_MT64x64x32_MI16x16x4x1_SN_1LDSB1_APM1_AF0EM1_AF1EM1_AMAS0_ASGT_ASLT1129_ASEM1_BL1_BS1_CLR0_DTVA0_DTVB0_ETB_EPS1_ELFLR0_EMLL0_FSSC10_FL0_GLVWA2_GLVWB1_GRCGA1_GRCGB1_GRVWn1_GSU1_GSUASB_GLS0_IU1_K1_LBSPPA0_LBSPPB256_LPA0_LPB1_LRVW1_MIAV1_MKFGSU256_NTA0_NTB0_NTC0_NTD0_NEPBS4_NLCA1_NLCB1_ONLL1_PK0_PGR2_PLR9_PKA0_SIA3_SS1_SU0_SUM0_SUS0_SPO0_SRVW0_SSO0_SVW1_TSGRA0_TSGRB0_TT1_64_TLDS1_UMLDSA0_UMLDSB1_USFGROn1_VAW1_VSn1_VW1_VWB1_VFLRP0_WSGRA0_WSGRB0_WG64_4_1_WGM1
    .symbol: 'Cijk_Ailk_Bljk_CB_MT64x64x32_MI16x16x4x1_SN_1LDSB1_APM1_AF0EM1_AF1EM1_AMAS0_ASGT_ASLT1129_ASEM1_BL1_BS1_CLR0_DTVA0_DTVB0_ETB_EPS1_ELFLR0_EMLL0_FSSC10_FL0_GLVWA2_GLVWB1_GRCGA1_GRCGB1_GRVWn1_GSU1_GSUASB_GLS0_IU1_K1_LBSPPA0_LBSPPB256_LPA0_LPB1_LRVW1_MIAV1_MKFGSU256_NTA0_NTB0_NTC0_NTD0_NEPBS4_NLCA1_NLCB1_ONLL1_PK0_PGR2_PLR9_PKA0_SIA3_SS1_SU0_SUM0_SUS0_SPO0_SRVW0_SSO0_SVW1_TSGRA0_TSGRB0_TT1_64_TLDS1_UMLDSA0_UMLDSB1_USFGROn1_VAW1_VSn1_VW1_VWB1_VFLRP0_WSGRA0_WSGRB0_WG64_4_1_WGM1.kd'
    .language:                   OpenCL C
    .language_version:
      - 2
      - 0
    .args:
      - .name:            Tensor2dSizeA
        .size:            8
        .offset:          0
        .value_kind:      by_value
        .value_type:      u64
      - .name:            Tensor2dSizeB
        .size:            8
        .offset:          8
        .value_kind:      by_value
        .value_type:      u64
      - .name:            AddressD
        .size:            8
        .offset:          16
        .value_kind:      by_value
        .value_type:      u64
      - .name:            AddressC
        .size:            8
        .offset:          24
        .value_kind:      by_value
        .value_type:      u64
      - .name:            AddressA
        .size:            8
        .offset:          32
        .value_kind:      by_value
        .value_type:      u64
      - .name:            AddressB
        .size:            8
        .offset:          40
        .value_kind:      by_value
        .value_type:      u64
      - .name:            Alpha
        .size:            8
        .offset:          48
        .value_kind:      by_value
        .value_type:      u64
      - .name:            Beta
        .size:            8
        .offset:          56
        .value_kind:      by_value
        .value_type:      u64
      - .name:            StridesD
        .size:            8
        .offset:          64
        .value_kind:      by_value
        .value_type:      u64
      - .name:            StridesC
        .size:            8
        .offset:          72
        .value_kind:      by_value
        .value_type:      u64
      - .name:            StridesA
        .size:            8
        .offset:          80
        .value_kind:      by_value
        .value_type:      u64
      - .name:            StridesB
        .size:            8
        .offset:          88
        .value_kind:      by_value
        .value_type:      u64
      - .name:            SizesFree
        .size:            12
        .offset:          96
        .value_kind:      by_value
        .value_type:      u96
      - .name:            SizesSum
        .size:            4
        .offset:          108
        .value_kind:      by_value
        .value_type:      u32
      - .name:            NumWorkGroups0
        .size:            4
        .offset:          112
        .value_kind:      by_value
        .value_type:      u32
      - .name:            NumWorkGroups1
        .size:            4
        .offset:          116
        .value_kind:      by_value
        .value_type:      u32
    .group_segment_fixed_size:   33280
    .kernarg_segment_align:      8
    .kernarg_segment_size:       120
    .max_flat_workgroup_size:    256
    .private_segment_fixed_size: 0
    .sgpr_count:                 68
    .sgpr_spill_count:           0
    .vgpr_count:                 256
    .vgpr_spill_count:           0
    .wavefront_size:             64
...
.end_amdgpu_metadata
Cijk_Ailk_Bljk_CB_MT64x64x32_MI16x16x4x1_SN_1LDSB1_APM1_AF0EM1_AF1EM1_AMAS0_ASGT_ASLT1129_ASEM1_BL1_BS1_CLR0_DTVA0_DTVB0_ETB_EPS1_ELFLR0_EMLL0_FSSC10_FL0_GLVWA2_GLVWB1_GRCGA1_GRCGB1_GRVWn1_GSU1_GSUASB_GLS0_IU1_K1_LBSPPA0_LBSPPB256_LPA0_LPB1_LRVW1_MIAV1_MKFGSU256_NTA0_NTB0_NTC0_NTD0_NEPBS4_NLCA1_NLCB1_ONLL1_PK0_PGR2_PLR9_PKA0_SIA3_SS1_SU0_SUM0_SUS0_SPO0_SRVW0_SSO0_SVW1_TSGRA0_TSGRB0_TT1_64_TLDS1_UMLDSA0_UMLDSB1_USFGROn1_VAW1_VSn1_VW1_VWB1_VFLRP0_WSGRA0_WSGRB0_WG64_4_1_WGM1:

/******************************************/
/* Asm syntax workarounds                 */
/******************************************/
.macro _v_add_co_u32 dst:req, cc:req, src0:req, src1:req, dpp=
   v_add_co_u32 \dst, \cc, \src0, \src1 \dpp
.endm

.macro _v_add_u32 dst:req, src0:req, src1:req, dpp=
   v_add_u32 \dst, \src0, \src1 \dpp
.endm

.macro _v_add_i32 dst:req, src0:req, src1:req, dpp=
   v_add_i32 \dst, \src0, \src1 \dpp
.endm

.macro _v_addc_co_u32 dst:req, ccOut:req, src0:req, ccIn:req, src1:req, dpp=
   v_addc_co_u32 \dst, \ccOut, \src0, \ccIn, \src1 \dpp
.endm

.macro _v_sub_co_u32 dst:req, cc:req, src0:req, src1:req, dpp=
   v_sub_co_u32 \dst, \cc, \src0, \src1 \dpp
.endm

.macro _v_sub_u32 dst:req, src0:req, src1:req, dpp=
   v_sub_u32 \dst, \src0, \src1 \dpp
.endm

.macro _v_sub_i32 dst:req, src0:req, src1:req, dpp=
   v_sub_i32 \dst, \src0, \src1 \dpp
.endm

.macro _v_add_lshl_u32 dst:req, src0:req, src1:req, shiftCnt:req
    v_add_lshl_u32 \dst, \src0, \src1, \shiftCnt
.endm

.macro _v_lshl_add_u32 dst:req, src0:req, src1:req, shiftCnt:req
    v_lshl_add_u32 \dst, \src0, \src1, \shiftCnt
.endm

.macro _v_lshl_or_b32 dst:req, src0:req, shiftCnt:req, src1:req
    v_lshl_or_b32 \dst, \src0, \shiftCnt, \src1
.endm

.macro _v_dot2acc_f32_f16 dst, src0, src1
v_dot2c_f32_f16 \dst, \src0, \src1
.endm

.macro _v_cmpx_lt_i16 dst, src0, src1=
   v_cmpx_lt_i16 \dst, \src0, \src1 
.endm

.macro _v_cmpx_lt_i32 dst, src0, src1=
   v_cmpx_lt_i32 \dst, \src0, \src1 
.endm

.macro _v_cmpx_lt_i64 dst, src0, src1=
   v_cmpx_lt_i64 \dst, \src0, \src1 
.endm

.macro _v_cmpx_lt_u16 dst, src0, src1=
   v_cmpx_lt_u16 \dst, \src0, \src1 
.endm

.macro _v_cmpx_lt_u32 dst, src0, src1=
   v_cmpx_lt_u32 \dst, \src0, \src1 
.endm

.macro _v_cmpx_lt_u64 dst, src0, src1=
   v_cmpx_lt_u64 \dst, \src0, \src1 
.endm

.macro _v_cmpx_eq_i16 dst, src0, src1=
   v_cmpx_eq_i16 \dst, \src0, \src1 
.endm

.macro _v_cmpx_eq_i32 dst, src0, src1=
   v_cmpx_eq_i32 \dst, \src0, \src1 
.endm

.macro _v_cmpx_eq_i64 dst, src0, src1=
   v_cmpx_eq_i64 \dst, \src0, \src1 
.endm

.macro _v_cmpx_eq_u16 dst, src0, src1=
   v_cmpx_eq_u16 \dst, \src0, \src1 
.endm

.macro _v_cmpx_eq_u32 dst, src0, src1=
   v_cmpx_eq_u32 \dst, \src0, \src1 
.endm

.macro _v_cmpx_eq_u64 dst, src0, src1=
   v_cmpx_eq_u64 \dst, \src0, \src1 
.endm

.macro _v_cmpx_le_i16 dst, src0, src1=
   v_cmpx_le_i16 \dst, \src0, \src1 
.endm

.macro _v_cmpx_le_i32 dst, src0, src1=
   v_cmpx_le_i32 \dst, \src0, \src1 
.endm

.macro _v_cmpx_le_i64 dst, src0, src1=
   v_cmpx_le_i64 \dst, \src0, \src1 
.endm

.macro _v_cmpx_le_u16 dst, src0, src1=
   v_cmpx_le_u16 \dst, \src0, \src1 
.endm

.macro _v_cmpx_le_u32 dst, src0, src1=
   v_cmpx_le_u32 \dst, \src0, \src1 
.endm

.macro _v_cmpx_le_u64 dst, src0, src1=
   v_cmpx_le_u64 \dst, \src0, \src1 
.endm

.macro _v_cmpx_gt_i16 dst, src0, src1=
   v_cmpx_gt_i16 \dst, \src0, \src1 
.endm

.macro _v_cmpx_gt_i32 dst, src0, src1=
   v_cmpx_gt_i32 \dst, \src0, \src1 
.endm

.macro _v_cmpx_gt_i64 dst, src0, src1=
   v_cmpx_gt_i64 \dst, \src0, \src1 
.endm

.macro _v_cmpx_gt_u16 dst, src0, src1=
   v_cmpx_gt_u16 \dst, \src0, \src1 
.endm

.macro _v_cmpx_gt_u32 dst, src0, src1=
   v_cmpx_gt_u32 \dst, \src0, \src1 
.endm

.macro _v_cmpx_gt_u64 dst, src0, src1=
   v_cmpx_gt_u64 \dst, \src0, \src1 
.endm

.macro _v_cmpx_ne_i16 dst, src0, src1=
   v_cmpx_ne_i16 \dst, \src0, \src1 
.endm

.macro _v_cmpx_ne_i32 dst, src0, src1=
   v_cmpx_ne_i32 \dst, \src0, \src1 
.endm

.macro _v_cmpx_ne_i64 dst, src0, src1=
   v_cmpx_ne_i64 \dst, \src0, \src1 
.endm

.macro _v_cmpx_ne_u16 dst, src0, src1=
   v_cmpx_ne_u16 \dst, \src0, \src1 
.endm

.macro _v_cmpx_ne_u32 dst, src0, src1=
   v_cmpx_ne_u32 \dst, \src0, \src1 
.endm

.macro _v_cmpx_ne_u64 dst, src0, src1=
   v_cmpx_ne_u64 \dst, \src0, \src1 
.endm

.macro _v_cmpx_lg_i16 dst, src0, src1=
   v_cmpx_lg_i16 \dst, \src0, \src1 
.endm

.macro _v_cmpx_lg_i32 dst, src0, src1=
   v_cmpx_lg_i32 \dst, \src0, \src1 
.endm

.macro _v_cmpx_lg_i64 dst, src0, src1=
   v_cmpx_lg_i64 \dst, \src0, \src1 
.endm

.macro _v_cmpx_lg_u16 dst, src0, src1=
   v_cmpx_lg_u16 \dst, \src0, \src1 
.endm

.macro _v_cmpx_lg_u32 dst, src0, src1=
   v_cmpx_lg_u32 \dst, \src0, \src1 
.endm

.macro _v_cmpx_lg_u64 dst, src0, src1=
   v_cmpx_lg_u64 \dst, \src0, \src1 
.endm

.macro _v_cmpx_ge_i16 dst, src0, src1=
   v_cmpx_ge_i16 \dst, \src0, \src1 
.endm

.macro _v_cmpx_ge_i32 dst, src0, src1=
   v_cmpx_ge_i32 \dst, \src0, \src1 
.endm

.macro _v_cmpx_ge_i64 dst, src0, src1=
   v_cmpx_ge_i64 \dst, \src0, \src1 
.endm

.macro _v_cmpx_ge_u16 dst, src0, src1=
   v_cmpx_ge_u16 \dst, \src0, \src1 
.endm

.macro _v_cmpx_ge_u32 dst, src0, src1=
   v_cmpx_ge_u32 \dst, \src0, \src1 
.endm

.macro _v_cmpx_ge_u64 dst, src0, src1=
   v_cmpx_ge_u64 \dst, \src0, \src1 
.endm

.macro _v_cmpx_o_i16 dst, src0, src1=
   v_cmpx_o_i16 \dst, \src0, \src1 
.endm

.macro _v_cmpx_o_i32 dst, src0, src1=
   v_cmpx_o_i32 \dst, \src0, \src1 
.endm

.macro _v_cmpx_o_i64 dst, src0, src1=
   v_cmpx_o_i64 \dst, \src0, \src1 
.endm

.macro _v_cmpx_o_u16 dst, src0, src1=
   v_cmpx_o_u16 \dst, \src0, \src1 
.endm

.macro _v_cmpx_o_u32 dst, src0, src1=
   v_cmpx_o_u32 \dst, \src0, \src1 
.endm

.macro _v_cmpx_o_u64 dst, src0, src1=
   v_cmpx_o_u64 \dst, \src0, \src1 
.endm

.macro _v_cmpx_u_i16 dst, src0, src1=
   v_cmpx_u_i16 \dst, \src0, \src1 
.endm

.macro _v_cmpx_u_i32 dst, src0, src1=
   v_cmpx_u_i32 \dst, \src0, \src1 
.endm

.macro _v_cmpx_u_i64 dst, src0, src1=
   v_cmpx_u_i64 \dst, \src0, \src1 
.endm

.macro _v_cmpx_u_u16 dst, src0, src1=
   v_cmpx_u_u16 \dst, \src0, \src1 
.endm

.macro _v_cmpx_u_u32 dst, src0, src1=
   v_cmpx_u_u32 \dst, \src0, \src1 
.endm

.macro _v_cmpx_u_u64 dst, src0, src1=
   v_cmpx_u_u64 \dst, \src0, \src1 
.endm
.macro _v_mac_f32 c:req, a:req, b:req
    v_fmac_f32 \c, \a, \b
.endmacro

/* scale global load macros */
.macro _s_load_b32 dst base offset
    s_load_dword \dst \base \offset
.endm

.macro _s_load_b64 dst base offset
    s_load_dwordx2 \dst \base \offset
.endm

.macro _s_load_b128 dst base offset
    s_load_dwordx4 \dst \base \offset
.endm

.macro _s_load_b256 dst base offset
    s_load_dwordx8 \dst \base \offset
.endm

.macro _s_load_b512 dst base offset
    s_load_dwordx16 \dst \base \offset
.endm


/* ds operation macros */
.macro _ds_load_u8 dst src offset
    ds_read_u8 \dst \src \offset
.endm

.macro _ds_load_u8_d16_hi dst src offset
    ds_read_u8_d16_hi \dst \src \offset
.endm

.macro _ds_load_u16 dst src offset
    ds_read_u16 \dst \src \offset
.endm

.macro _ds_load_u16_d16_hi dst src offset
    ds_read_u16_d16_hi \dst \src \offset
.endm

.macro _ds_load_b32 dst src offset
    ds_read_b32 \dst \src \offset
.endm

.macro _ds_load_b64 dst src offset
    ds_read_b64 \dst \src \offset
.endm

.macro _ds_load_b128 dst src offset
    ds_read_b128 \dst \src \offset
.endm

.macro _ds_store_b8 dst src offset
    ds_write_b8 \dst \src \offset
.endm

.macro _ds_store_b8_d16_hi dst src offset
    ds_write_b8_d16_hi \dst \src \offset
.endm

.macro _ds_store_b16 dst src offset
    ds_write_b16 \dst \src \offset
.endm

.macro _ds_store_b16_d16_hi dst src offset
    ds_write_b16_d16_hi \dst \src \offset
.endm

.macro _ds_store_b32 dst src offset
    ds_write_b32 \dst \src \offset
.endm

.macro _ds_store_b64 dst src offset
    ds_write_b64 \dst \src \offset
.endm

.macro _ds_store_b128 dst src offset
    ds_write_b128 \dst \src \offset
.endm

.macro _ds_load2_b32 dst src offset1 offset2
    ds_read2_b32 \dst \src \offset1 \offset2
.endm

.macro _ds_load2_b64 dst src offset1 offset2
    ds_read2_b64 \dst \src \offset1 \offset2
.endm

.macro _ds_store2_b32 dst src offset1 offset2
    ds_write2_b32 \dst \src \offset1 \offset2
.endm

.macro _ds_store2_b64 dst src offset1 offset2
    ds_write2_b64 \dst \src \offset1 \offset2
.endm


/* buffer memory operation macros */
.macro _buffer_load_b32 dst voffset base soffset offen ioffset md0 md1 md2
    buffer_load_dword \dst \voffset \base \soffset \offen \ioffset \md0 \md1 \md2
.endm

.macro _buffer_load_b64 dst voffset base soffset offen ioffset md0 md1 md2
    buffer_load_dwordx2 \dst \voffset \base \soffset \offen \ioffset \md0 \md1 \md2
.endm

.macro _buffer_load_b96 dst voffset base soffset offen ioffset md0 md1 md2
    buffer_load_dwordx3 \dst \voffset \base \soffset \offen \ioffset \md0 \md1 \md2
.endm

.macro _buffer_load_b128 dst voffset base soffset offen ioffset md0 md1 md2
    buffer_load_dwordx4 \dst \voffset \base \soffset \offen \ioffset \md0 \md1 \md2
.endm

.macro _buffer_load_d16_b16 dst voffset base soffset offen ioffset md0 md1 md2
    buffer_load_short_d16 \dst \voffset \base \soffset \offen \ioffset \md0 \md1 \md2
.endm

.macro _buffer_load_d16_hi_b16 dst voffset base soffset offen ioffset md0 md1 md2
    buffer_load_short_d16_hi \dst \voffset \base \soffset \offen \ioffset \md0 \md1 \md2
.endm

.macro _buffer_load_d16_u8 dst voffset base soffset offen ioffset md0 md1 md2
    buffer_load_ubyte_d16 \dst \voffset \base \soffset \offen \ioffset \md0 \md1 \md2
.endm

.macro _buffer_load_d16_hi_u8 dst voffset base soffset offen ioffset md0 md1 md2
    buffer_load_ubyte_d16_hi \dst \voffset \base \soffset \offen \ioffset \md0 \md1 \md2
.endm

.macro _buffer_load_u16 dst voffset base soffset offen ioffset md0 md1 md2
    buffer_load_ushort \dst \voffset \base \soffset \offen \ioffset \md0 \md1 \md2
.endm

.macro _buffer_load_b32_dtl voffset base soffset offen ioffset md0 md1 md2
    buffer_load_dword \voffset \base \soffset \offen \ioffset \md0 \md1 \md2
.endm

.macro _buffer_load_b64_dtl voffset base soffset offen ioffset md0 md1 md2
    buffer_load_dwordx2 \voffset \base \soffset \offen \ioffset \md0 \md1 \md2
.endm

.macro _buffer_load_b128_dtl voffset base soffset offen ioffset md0 md1 md2
    buffer_load_dwordx4 \voffset \base \soffset \offen \ioffset \md0 \md1 \md2
.endm

.macro _buffer_load_u16_dtl voffset base soffset offen ioffset md0 md1 md2
    buffer_load_ushort \voffset \base \soffset \offen \ioffset \md0 \md1 \md2
.endm

.macro _buffer_store_b32 src voffset base soffset offen ioffset md0 md1 md2
    buffer_store_dword \src \voffset \base \soffset \offen \ioffset \md0 \md1 \md2
.endm

.macro _buffer_store_b64 src voffset base soffset offen ioffset md0 md1 md2
    buffer_store_dwordx2 \src \voffset \base \soffset \offen \ioffset \md0 \md1 \md2
.endm

.macro _buffer_store_b96 src voffset base soffset offen ioffset md0 md1 md2
    buffer_store_dwordx3 \src \voffset \base \soffset \offen \ioffset \md0 \md1 \md2
.endm

.macro _buffer_store_b128 src voffset base soffset offen ioffset md0 md1 md2
    buffer_store_dwordx4 \src \voffset \base \soffset \offen \ioffset \md0 \md1 \md2
.endm

.macro _buffer_store_b16 src voffset base soffset offen ioffset md0 md1 md2
    buffer_store_short \src \voffset \base \soffset \offen \ioffset \md0 \md1 \md2
.endm

.macro _buffer_store_d16_hi_b16 src voffset base soffset offen ioffset md0 md1 md2
    buffer_store_short_d16_hi \src \voffset \base \soffset \offen \ioffset \md0 \md1 \md2
.endm

.macro _buffer_store_b8 src voffset base soffset offen ioffset md0 md1 md2
    buffer_store_byte \src \voffset \base \soffset \offen \ioffset \md0 \md1 \md2
.endm

.macro _buffer_store_d16_hi_b8 src voffset base soffset offen ioffset md0 md1 md2
    buffer_store_byte_d16_hi \src \voffset \base \soffset \offen \ioffset \md0 \md1 \md2
.endm

.macro _buffer_atomic_cmpswap_b32 dst voffset base soffset offen ioffset md0 md1 md2
    buffer_atomic_cmpswap \dst \voffset \base \soffset \offen \ioffset \md0 \md1 \md2
.endm

.macro _buffer_atomic_cmpswap_b64 dst voffset base soffset offen ioffset md0 md1 md2
    buffer_atomic_cmpswap_x2 \dst \voffset \base \soffset \offen \ioffset \md0 \md1 \md2
.endm


/* buffer memory operation macros */
.macro _global_load_b32 dst base src ioffset md0 md1 md2
    global_load_dword \dst \base \src \ioffset \md0 \md1 \md2
.endm

.macro _global_load_b64 dst base src ioffset md0 md1 md2
    global_load_dwordx2 \dst \base \src \ioffset \md0 \md1 \md2
.endm

.macro _global_load_b96 dst base src ioffset md0 md1 md2
    global_load_dwordx3 \dst \base \src \ioffset \md0 \md1 \md2
.endm

.macro _global_load_b128 dst base src ioffset md0 md1 md2
    global_load_dwordx4 \dst \base \src \ioffset \md0 \md1 \md2
.endm

.macro _global_load_d16_b16 dst base src ioffset md0 md1 md2
    global_load_short_d16 \dst \base \src \ioffset \md0 \md1 \md2
.endm

.macro _global_load_d16_hi_b16 dst base src ioffset md0 md1 md2
    global_load_short_d16_hi \dst \base \src \ioffset \md0 \md1 \md2
.endm

.macro _global_load_d16_u8 dst base src ioffset md0 md1 md2
    global_load_ubyte_d16 \dst \base \src \ioffset \md0 \md1 \md2
.endm

.macro _global_load_d16_hi_u8 dst base src ioffset md0 md1 md2
    global_load_ubyte_d16_hi \dst \base \src \ioffset \md0 \md1 \md2
.endm

.macro _global_load_u16 dst base src ioffset md0 md1 md2
    global_load_ushort \dst \base \src \ioffset \md0 \md1 \md2
.endm

.macro _global_store_b32 base src src2 md0 md1 md2
    global_store_dword \base \src \src2 \md0 \md1 \md2
.endm

.macro _global_store_b64 base src src2 md0 md1 md2
    global_store_dwordx2 \base \src \src2 \md0 \md1 \md2
.endm

.macro _global_store_b96 base src src2 md0 md1 md2
    global_store_dwordx3 \base \src \src2 \md0 \md1 \md2
.endm

.macro _global_store_b128 base src src2 md0 md1 md2
    global_store_dwordx4 \base \src \src2 \md0 \md1 \md2
.endm

.macro _global_store_d16_b16 base src src2 md0 md1 md2
    global_store_short \base \src \src2 \md0 \md1 \md2
.endm

.macro _global_store_d16_hi_b16 base src src2 md0 md1 md2
    global_store_short_d16_hi \base \src \src2 \md0 \md1 \md2
.endm

.macro _global_store_d16_u8 base src src2 md0 md1 md2
    global_store_ubyte_d16 \base \src \src2 \md0 \md1 \md2
.endm

.macro _global_store_d16_hi_u8 base src src2 md0 md1 md2
    global_store_ubyte_d16_hi \base \src \src2 \md0 \md1 \md2
.endm

.macro _global_store_u16 base src src2 md0 md1 md2
    global_store_ushort \base \src \src2 \md0 \md1 \md2
.endm

.macro _global_atomic_cmpswap_b32 tmp base data src ioffset md
    global_atomic_cmpswap \tmp \base \data \src \ioffset \md
.endm

.macro _global_atomic_cmpswap_b64 tmp base data src ioffset md
    global_atomic_cmpswap_x2 \tmp \base \data \src \ioffset \md
.endm


/******************************************/
/* Magic div and mod functions            */
/******************************************/
.macro V_MAGIC_DIV dstIdx:req, dividend:req, magicNumber:req, magicShift:req, magicA:req
    v_mul_hi_u32 v[\dstIdx+1], \dividend, \magicNumber
    v_mul_lo_u32 v[\dstIdx+0], \dividend, \magicA
    _v_add_u32 v[\dstIdx+0], v[\dstIdx+0], v[\dstIdx+1]
    v_lshrrev_b32 v[\dstIdx+0], \magicShift, v[\dstIdx+0]
.endm

/******************************************/
/* VGPR Assignments                       */
/******************************************/
/* ValuC range: [0-32), serializedStore enabled */
.set vgprValuC, 0
/* ValuA/B   Xn=PLR buffer idx,  In=InnerUnroll idx */
.set vgprValuA_X0_I0, 32
.set vgprValuA_X1_I0, 34
.set vgprValuA_X2_I0, 36
.set vgprValuA_X3_I0, 38
.set vgprValuA_X4_I0, 40
.set vgprValuA_X5_I0, 42
.set vgprValuA_X6_I0, 44
.set vgprValuA_X7_I0, 46
.set vgprG2LA, 116
.set vgprValuB_X0_I0, 48
.set vgprValuB_X1_I0, 56
.set vgprValuB_X2_I0, 64
.set vgprValuB_X3_I0, 72
.set vgprValuB_X4_I0, 80
.set vgprValuB_X5_I0, 88
.set vgprValuB_X6_I0, 96
.set vgprValuB_X7_I0, 104
.set vgprG2LB, 132
.set vgprLocalWriteAddrA, 112
.set vgprLocalWriteAddrB, 113
.set vgprGlobalReadOffsetA, 114
.set vgprGlobalReadOffsetB, 115
.set vgprLocalReadAddrA, 148
.set vgprLocalReadAddrB, 149
.set vgprSerial, 150
/* Num VGPR=256 */
/* Num AccVGPR=0 */

/******************************************/
/* SGPR Assignments                       */
/******************************************/
.set sgprKernArgAddress, 0 // (2)
.set sgprWorkGroup0, 2 // (1)
.set sgprWorkGroup1, 3 // (1)
.set sgprWorkGroup2, 4 // (1)
.set sgprLoopCounterL, 5 // (1)
.set sgprOrigLoopCounter, 6 // (1)
.set sgprSrdA, 8 // (4)
.set sgprSrdB, 12 // (4)
.set sgprSrdD, 16 // (4)
.set sgprSrdC, 20 // (4)
.set sgprTensor2dSizeA, 24 // (2)
.set sgprTensor2dSizeB, 26 // (2)
.set sgprAddressD, 28 // (2)
.set sgprAddressC, 30 // (2)
.set sgprAddressA, 32 // (2)
.set sgprAddressB, 34 // (2)
.set sgprAlpha, 36 // (2)
.set sgprBeta, 38 // (2)
.set sgprStridesD, 40 // (2)
.set sgprStridesC, 42 // (2)
.set sgprStridesA, 44 // (2)
.set sgprStridesB, 46 // (2)
.set sgprSizesFree, 48 // (3)
.set sgprSizesSum, 51 // (1)
.set sgprNumWorkGroups0, 52 // (1)
.set sgprNumWorkGroups1, 53 // (1)
.set sgprShadowLimitA, 0 // (2)
.set sgprShadowLimitB, 28 // (2)
.set sgprGlobalReadIncsA, 7 // (1)
.set sgprGlobalReadIncsB, 30 // (1)
.set sgprScalarGlobalReadOffsetA, 31 // (3)
.set sgprScalarGlobalReadOffsetB, 56 // (7)
/* max SGPR=68 */

/* Size Assignments */
.set sgprSizeI, sgprSizesFree+0
.set sgprSizeJ, sgprSizesFree+1
.set sgprSizeK, sgprSizesFree+2
.set sgprSizeL, sgprSizesSum+0

/* Stride Assignments */
.set constStrideD0I, 1
.set sgprStrideD1J, sgprStridesD+0
.set sgprStrideDK, sgprStridesD+1
.set constStrideC0I, 1
.set sgprStrideC1J, sgprStridesC+0
.set sgprStrideCK, sgprStridesC+1
.set constStrideA0I, 1
.set sgprStrideAL, sgprStridesA+0
.set sgprStrideAK, sgprStridesA+1
.set constStrideBL, 1
.set sgprStrideB1J, sgprStridesB+0
.set sgprStrideBK, sgprStridesB+1

.set MT0, 64
.set MT1, 64
.set DepthU, 32
.set GSU, 1
.set BpeA, 8
.set BpeALog2, 3
.set BpeB, 8
.set BpeBLog2, 3
/* Number of elements to shift-left SRD */
.set SrdShiftLeftA, 2
.set SrdShiftLeftB, 1
/* 2GB limit - set offsets to -1 to exceed this and clamp */
.set BufferLimitA, 0xffffffff
.set BufferLimitB, 0xffffffff
.set BufferOOB, 0xfffff000

/******************************************/
/* Bits 127:96 of SRD.                    */
/* hex: 0x00020000                        */
/* dst_sel_x (3b): 0                      */
/* dst_sel_y (3b): 0                      */
/* dst_sel_z (3b): 0                      */
/* dst_sel_w (3b): 0                      */
/* num_format (3b): 0                     */
/* data_format (4b): 4                    */
/* user_vm_enable (1b): 0                 */
/* user_vm_mode (1b): 0                   */
/* index_stride (2b): 0                   */
/* add_tid_enable (1b): 0                 */
/* _unusedA (3b): 0                       */
/* nv (1b): 0                             */
/* _unusedB (2b): 0                       */
/* type (2b): 0                           */
/******************************************/
.set Srd127_96, 0x00020000

/* Global Offset A */
.macro GLOBAL_OFFSET_A vgprAddr:req vgprOffset0I:req vgprOffsetL:req vgprTmp:req
v_mul_lo_u32 v[\vgprTmp+0], s[sgprStrideAL], v[\vgprOffsetL] // mul d1 lower
_v_add_co_u32 v[\vgprAddr+0], vcc, v[\vgprOffset0I], v[\vgprTmp+0] // accumulate K lower
_v_add_u32 v[\vgprAddr+0], 0x2, v[\vgprAddr+0]     // add prepad for pointer shift
v_lshlrev_b32 v[\vgprAddr+0], 0x3, v[\vgprAddr+0]  // offset *= bytes/element
.endm

/* Global Offset B */
.macro GLOBAL_OFFSET_B vgprAddr:req vgprOffsetL:req vgprOffset1J:req vgprTmp:req
v_mul_lo_u32 v[\vgprTmp+0], s[sgprStrideB1J], v[\vgprOffset1J] // mul d1 lower
_v_add_co_u32 v[\vgprAddr+0], vcc, v[\vgprOffsetL], v[\vgprTmp+0] // accumulate K lower
_v_add_u32 v[\vgprAddr+0], 0x1, v[\vgprAddr+0]     // add prepad for pointer shift
v_lshlrev_b32 v[\vgprAddr+0], 0x3, v[\vgprAddr+0]  // offset *= bytes/element
.endm

/******************************************/
/* Dynamic Scalar Divide: vQuotient=vDividend/vDivisor; vRemainder=vDividend%vDivisor; */
/******************************************/
.macro DYNAMIC_VECTOR_DIVIDE vQuotient vRemainder vDividend vDivisor vTmp0 vTmp1 sTmp
v_cvt_f32_u32 v[\vQuotient], v[\vDivisor]          // 
v_rcp_f32 v[\vQuotient], v[\vQuotient]             // 
v_mul_f32 v[\vQuotient], 0x4f800000, v[\vQuotient] // 
v_cvt_u32_f32 v[\vQuotient], v[\vQuotient]         // 
v_mul_lo_u32 v[\vRemainder], v[\vDivisor], v[\vQuotient] // 
v_mul_hi_u32 v[\vTmp0], v[\vDivisor], v[\vQuotient] // 
_v_sub_co_u32 v[\vTmp1], vcc, 0x0, v[\vRemainder]  // 
v_cmp_ne_i32 s[\sTmp:\sTmp+1], 0x0, v[\vTmp0]      // 
v_cndmask_b32 v[\vRemainder], v[\vTmp1], v[\vRemainder], s[\sTmp:\sTmp+1] // 
v_mul_hi_u32 v[\vRemainder], v[\vRemainder], v[\vQuotient] // 
_v_sub_co_u32 v[\vTmp0], vcc, v[\vQuotient], v[\vRemainder] // 
_v_add_co_u32 v[\vQuotient], vcc, v[\vQuotient], v[\vRemainder] // 
v_cndmask_b32 v[\vQuotient], v[\vQuotient], v[\vTmp0], s[\sTmp:\sTmp+1] // 
v_mul_hi_u32 v[\vQuotient], v[\vQuotient], v[\vDividend] // 
v_mul_lo_u32 v[\vRemainder], v[\vQuotient], v[\vDivisor] // 
_v_sub_co_u32 v[\vTmp0], vcc, v[\vDividend], v[\vRemainder] // 
v_cmp_ge_u32 s[\sTmp:\sTmp+1], v[\vDividend], v[\vRemainder] // 
_v_add_co_u32 v[\vRemainder], vcc, 0x1, v[\vQuotient] // 
_v_add_co_u32 v[\vTmp1], vcc, -1, v[\vQuotient]    // 
v_cmp_le_u32 vcc, v[\vDivisor], v[\vTmp0]          // 
s_and_b64 vcc, s[\sTmp:\sTmp+1], vcc               // 
v_cndmask_b32 v[\vQuotient], v[\vQuotient], v[\vRemainder], vcc // 
v_cndmask_b32 v[\vQuotient], v[\vTmp1], v[\vQuotient], s[\sTmp:\sTmp+1] // 
v_cmp_ne_i32 vcc, 0x0, v[\vDivisor]                // 
v_cndmask_b32 v[\vQuotient], -1, v[\vQuotient], vcc // final result
v_mul_lo_u32 v[\vRemainder], v[\vQuotient], v[\vDivisor] // 
_v_sub_co_u32 v[\vRemainder], vcc, v[\vDividend], v[\vRemainder] // final result
.endm


	;; [unrolled: 1-line block ×3, first 2 shown]
/******************************************/
/* Allocate Resources                     */
/******************************************/

Cijk_Ailk_Bljk_CB_MT64x64x32_MI16x16x4x1_SN_1LDSB1_APM1_AF0EM1_AF1EM1_AMAS0_ASGT_ASLT1129_ASEM1_BL1_BS1_CLR0_DTVA0_DTVB0_ETB_EPS1_ELFLR0_EMLL0_FSSC10_FL0_GLVWA2_GLVWB1_GRCGA1_GRCGB1_GRVWn1_GSU1_GSUASB_GLS0_IU1_K1_LBSPPA0_LBSPPB256_LPA0_LPB1_LRVW1_MIAV1_MKFGSU256_NTA0_NTB0_NTC0_NTD0_NEPBS4_NLCA1_NLCB1_ONLL1_PK0_PGR2_PLR9_PKA0_SIA3_SS1_SU0_SUM0_SUS0_SPO0_SRVW0_SSO0_SVW1_TSGRA0_TSGRB0_TT1_64_TLDS1_UMLDSA0_UMLDSB1_USFGROn1_VAW1_VSn1_VW1_VWB1_VFLRP0_WSGRA0_WSGRB0_WG64_4_1_WGM1_preloaded: // Kernel start when preloading

/* Load Kernel Args */
_s_load_b512 s[24:39], s[sgprKernArgAddress:sgprKernArgAddress+1], 0x0 // 
_s_load_b256 s[40:47], s[sgprKernArgAddress:sgprKernArgAddress+1], 0x40 // 
_s_load_b128 s[48:51], s[sgprKernArgAddress:sgprKernArgAddress+1], 0x60 // 
_s_load_b64 s[52:53], s[sgprKernArgAddress:sgprKernArgAddress+1], 0x70 // 
s_mov_b32 m0, 0x8200                               // LDS clamp at 33280 bytes
v_mov_b32 v[vgprSerial], v0                        // thread serial id

/******************************************/
/* Local Read Addresses                   */
/******************************************/


/* local read addresses: tile assignments a/b */

/*lr0I*/
v_and_b32 v1, 63, v[vgprSerial]                    // 0. thread id in wave: wtid = tid % wavelength(64)
v_and_b32 v0, 15, v1                               // 1. N offset: nIdx = wtid % MI_N(16)
                                                   // 1. N offset: nOffset = nIdx * nStride(1) (multiplier is 1, do nothing)
                                                   // 2. block offset: bnIdx = bnIdx % num1DBlocks(1) is 0. do nothing
                                                   // 4. apply VectorWidth: bnOffset = bnOffset * vw(1) (multiplier is 1, do nothing)
v_lshrrev_b32 v1, 4, v1                            // 5. K offset: kIdx = wtid / (MIN(16) * MIBB(1))
v_lshlrev_b32 v1, 0x6, v1                          // 5. K offset: lrKOffset = kIdx * mStride(64)
_v_add_u32 v0, v1, v0                              // 6. offset in wave: lrOffset = bnOffset + lrKOffset
v_lshrrev_b32 v2, 6, v[vgprSerial]                 // 7. wave offset in N dimen: wtid = tid / dividedForWaveId(64)
v_and_b32 v1, 3, v2                                // 7. wave offset in M dimen: wtid0 = wtid / num1DWaves(4)
v_lshlrev_b32 v1, 0x4, v1                          // 7. wave offset in M dimen: wOffset = wtid0 * W0Stride(16)
_v_add_u32 v0, v1, v0                              // 8. final local read offset: flrOffset = lrOffset + WOffset
/*lr1J*/
v_and_b32 v2, 63, v[vgprSerial]                    // 0. thread id in wave: wtid = tid % wavelength(64)
v_and_b32 v1, 15, v2                               // 1. N offset: nIdx = wtid % MI_N(16)
v_lshlrev_b32 v1, 0x5, v1                          // 1. N offset: nOffset = nIdx * nStride(32)
                                                   // 2. block offset: bnIdx = bnIdx % num1DBlocks(1) is 0. do nothing
                                                   // 4. apply VectorWidth: bnOffset = bnOffset * vw(1) (multiplier is 1, do nothing)
v_lshrrev_b32 v2, 4, v2                            // 5. K offset: kIdx = wtid / (MIN(16) * MIBB(1))
                                                   // 5. K offset: lrKOffset = kIdx * mStride(1) (multiplier is 1, do nothing)
_v_add_u32 v1, v2, v1                              // 6. offset in wave: lrOffset = bnOffset + lrKOffset


/* local read addresses: final offsets a */

v_lshlrev_b32 v[vgprLocalReadAddrA], 0x3, v0       // Final Offset: offset = (lro0)*bpe


/* local read addresses: final offsets b */

v_lshlrev_b32 v[vgprLocalReadAddrB], 0x3, v1       // Final Offset: offset = (lro1)*bpe
v_lshrrev_b32 v0, 8, v[vgprLocalReadAddrB]         // Final Offset: padding 1 per block 256
v_lshlrev_b32 v0, 0x3, v0                          // Final Offset: padding 1 per block 256
_v_add_u32 v[vgprLocalReadAddrB], v0, v[vgprLocalReadAddrB] // Final Offset: add padding 1 per block 256


/* local read addresses: declare addresses a */

/* N/A */


/* local read addresses: declare addresses b */

_v_add_co_u32 v[vgprLocalReadAddrB+0], vcc, 0x4000, v[vgprLocalReadAddrB+0] //  += LdsOffsetB (lower)


/* global read addresses: tile offset assignment a */

/* LVCA = 32 */
/* v0 = (local)groA-tile = serial%LVCA (note (wgA*MTA) will be added to SRD) */
/* v1 = groA-unroll = serial/LVCA */
v_lshrrev_b32 v1, 5, v[vgprSerial]                 // v1 = v[vgprSerial] / 32
v_and_b32 v0, 31, v[vgprSerial]                    // v0 = v[vgprSerial] % 32
/* gro-tile *= glvw */
v_lshlrev_b32 v0, 0x1, v0                          // v0 = v0 * 2


/* global read addresses: tile offset assignment b */

/* LVCB = 32 */
/* v2 = (local)groB-tile = serial/LVCB (note (wgB*MTB) will be added to SRD) */
/* v3 = groB-unroll = serial%LVCB */
v_lshrrev_b32 v2, 5, v[vgprSerial]                 // v2 = v[vgprSerial] / 32
v_and_b32 v3, 31, v[vgprSerial]                    // v3 = v[vgprSerial] % 32
/* gro-unroll *= glvw */
                                                   // v3 = v3 * 1 (multiplier is 1, do nothing)


/******************************************/
/* Local Write Addresses                  */
/******************************************/

/* lwaTileAssignmentA = v0 */

/* lwaTileAssignmentB = v2 */

/* lwaUnrollAssignmentA = v1 */

/* lwaUnrollAssignmentB = v3 */


/* local write addresses: first offset a */

v_mul_u32_u24 v[vgprLocalWriteAddrA], 0x40, v1     // lwAL**(MTA + PAD)
_v_add_lshl_u32 v[vgprLocalWriteAddrA], v0, v[vgprLocalWriteAddrA], 0x3 // lwFOA = (lwAA + lwAL*(MT0I+PAD))*bpe


/* local write addresses: first offset b */

v_mul_u32_u24 v[vgprLocalWriteAddrB], 0x20, v2     // lwBL**(DepthU_Compute + PAD)
_v_add_lshl_u32 v[vgprLocalWriteAddrB], v3, v[vgprLocalWriteAddrB], 0x3 // lwFOB = (lwBB + lwBL*(DepthU+PAD))*bpe
v_lshrrev_b32 v4, 8, v[vgprLocalWriteAddrB]        // padding 1 per block 256
v_lshlrev_b32 v4, 0x3, v4                          // padding 1 per block 256
_v_add_u32 v[vgprLocalWriteAddrB], v4, v[vgprLocalWriteAddrB] // add padding 1 per block 256
_v_add_co_u32 v[vgprLocalWriteAddrB], vcc, 0x4000, v[vgprLocalWriteAddrB] // lwFOB = lwB1J + lwBL*MT1J + LDS_OFFSET_B=2048*8


	;; [unrolled: 1-line block ×7, first 2 shown]
s_waitcnt lgkmcnt(0)                               // wait for 120 bytes of kern args
s_mov_b64 s[sgprSrdC+0:sgprSrdC+0+1], s[sgprAddressC+0:sgprAddressC+0+1] // copy addressC
s_mov_b64 s[sgprSrdD+0:sgprSrdD+0+1], s[sgprAddressD+0:sgprAddressD+0+1] // copy addressD
s_sub_u32 s[sgprSrdA+0], s[sgprAddressA+0], 16     // pre-pad to make room for possible pointer shift
s_subb_u32 s[sgprSrdA+1], s[sgprAddressA+1], 0     // pre-pad to make room for possible pointer shift
s_sub_u32 s[sgprSrdB+0], s[sgprAddressB+0], 8      // pre-pad to make room for possible pointer shift
s_subb_u32 s[sgprSrdB+1], s[sgprAddressB+1], 0     // pre-pad to make room for possible pointer shift

.set AddressD, UNDEF
.set AddressC, UNDEF
.set AddressA, UNDEF
.set AddressB, UNDEF

/* Short circuit condition if Alpha == 0, then sumDims=0 */
v_cmp_eq_f32 vcc, s[sgprAlpha], 0.0                // Alpha.real == 0.0f ?
s_cbranch_vccz label_AlphaNonZero                  // branch if Alpha.real != 0
v_cmp_eq_f32 vcc, s[sgprAlpha+1], 0.0              // Alpha.imag == 0.0f ?
s_cbranch_vccz label_AlphaNonZero                  // branch if Alpha.imag != 0
s_mov_b32 s[sgprSizesSum+0], 0x0                   // Set summation dim=0 if Alpha == 0
label_AlphaNonZero:


	;; [unrolled: 1-line block ×3, first 2 shown]
/******************************************/
/* Begin setupNewTile, isPap=False           */
/******************************************/


/* global read addresses: work-group */

/* graWorkGroup mapping */


/* global read addresses: unroll assignment a */

/* v1 */


/* global read addresses: unroll assignment b */

/* v3 */


/* global read addresses: other free assignments */

/* s[sgprWorkGroup2] */


/* global read addresses: tile offsets a */


	;; [unrolled: 1-line block ×3, first 2 shown]
/* global read addresses: tile offsets b */


	;; [unrolled: 1-line block ×3, first 2 shown]
/* global read addresses: unroll offsets a */


	;; [unrolled: 1-line block ×3, first 2 shown]
/* global read addresses: unroll offsets b */


	;; [unrolled: 1-line block ×3, first 2 shown]
/* global read addresses: branch a */



/* global read addresses: branch b */


	;; [unrolled: 1-line block ×3, first 2 shown]
/* global read addresses: final offsets a */

GLOBAL_OFFSET_A vgprGlobalReadOffsetA+0,  0,  1, 4 // gROA_0_0_0_0
s_mul_i32 s[sgprScalarGlobalReadOffsetA+0], s[sgprStrideAL], 8 // compute offset diff (scaled unrollDim)
s_lshl_b32 s[sgprScalarGlobalReadOffsetA+0], s[sgprScalarGlobalReadOffsetA+0], 0x3 // scalar offset *= bytes/element
s_mul_i32 s[sgprScalarGlobalReadOffsetA+1], s[sgprStrideAL], 16 // compute offset diff (scaled unrollDim)
s_lshl_b32 s[sgprScalarGlobalReadOffsetA+1], s[sgprScalarGlobalReadOffsetA+1], 0x3 // scalar offset *= bytes/element
	;; [unrolled: 2-line block ×3, first 2 shown]


/* global read addresses: final offsets b */

GLOBAL_OFFSET_B vgprGlobalReadOffsetB+0,  3,  2, 4 // gROB_0_0_0_0
s_mul_i32 s[sgprScalarGlobalReadOffsetB+0], s[sgprStrideB1J], 8 // compute offset diff (scaled tileDim)
s_lshl_b32 s[sgprScalarGlobalReadOffsetB+0], s[sgprScalarGlobalReadOffsetB+0], 0x3 // scalar offset *= bytes/element
s_mul_i32 s[sgprScalarGlobalReadOffsetB+1], s[sgprStrideB1J], 16 // compute offset diff (scaled tileDim)
s_lshl_b32 s[sgprScalarGlobalReadOffsetB+1], s[sgprScalarGlobalReadOffsetB+1], 0x3 // scalar offset *= bytes/element
	;; [unrolled: 2-line block ×7, first 2 shown]


/* global read addresses: addresses a */

/* max read offset = size[n] * stride[n-1] */
s_mul_hi_u32 s65, s[sgprWorkGroup0], 64            // WorkGroup[01] * MT
s_mul_i32 s64, s[sgprWorkGroup0], 64               // WorkGroup[01] * MT
s_sub_u32 s[sgprShadowLimitA+0], s[sgprTensor2dSizeA], s64 // sub tileStart
s_subb_u32 s[sgprShadowLimitA+1], s[sgprTensor2dSizeA+1], s65 // sub tileStart
s_lshl_b64 s[sgprShadowLimitA:sgprShadowLimitA+1], s[sgprShadowLimitA:sgprShadowLimitA+1], 0x3 // Set limit to use bytes
s_add_u32 s[sgprShadowLimitA+0], s[sgprShadowLimitA+0], 16 // extend limit for pre-pad
s_addc_u32 s[sgprShadowLimitA+1], s[sgprShadowLimitA+1], 0 // extend limit for pre-pad
s_cmp_eq_u32 s[sgprShadowLimitA+1], 0              // are we within 2^32?
s_cselect_b32 s[sgprSrdA+2], s[sgprShadowLimitA+0], BufferLimitA // Move shadow to real if we are within 2^32
s_mul_hi_u32 s35, s[sgprStrideAK], s[sgprWorkGroup2] // Stride*WG
s_mul_i32 s34, s[sgprStrideAK], s[sgprWorkGroup2]  // Stride*WG
s_add_u32 s64, s64, s34                            // accum wg term to tilestart
s_addc_u32 s65, s65, s35                           // accum wg term to tilestart
s_lshl_b64 s[64:65], s[64:65], 0x3                 // tileStart *= BPE
s_add_u32 s[sgprSrdA+0], s[sgprSrdA+0], s64        // SRD base = Address+ tileStart0
s_addc_u32 s[sgprSrdA+1], s[sgprSrdA+1], s65       // SRD base = Address+ tileStart1
s_mov_b32 s[sgprSrdA+3], Srd127_96                 // Set bits 127_96 in SRD


/* global read addresses: addresses b */

/* max read offset = size[n] * stride[n-1] */
s_mul_hi_u32 s65, s[sgprWorkGroup1], 64            // WorkGroup[01] * MT
s_mul_i32 s64, s[sgprWorkGroup1], 64               // WorkGroup[01] * MT
s_mul_hi_u32 s65, s64, s[sgprStrideB1J]            // tlu=0, scaled tile-offset by stride
s_mul_i32 s64, s64, s[sgprStrideB1J]               // tlu=0, scaled tile-offset by stride
s_sub_u32 s[sgprShadowLimitB+0], s[sgprTensor2dSizeB], s64 // sub tileStart
s_subb_u32 s[sgprShadowLimitB+1], s[sgprTensor2dSizeB+1], s65 // sub tileStart
s_lshl_b64 s[sgprShadowLimitB:sgprShadowLimitB+1], s[sgprShadowLimitB:sgprShadowLimitB+1], 0x3 // Set limit to use bytes
s_add_u32 s[sgprShadowLimitB+0], s[sgprShadowLimitB+0], 8 // extend limit for pre-pad
s_addc_u32 s[sgprShadowLimitB+1], s[sgprShadowLimitB+1], 0 // extend limit for pre-pad
s_cmp_eq_u32 s[sgprShadowLimitB+1], 0              // are we within 2^32?
s_cselect_b32 s[sgprSrdB+2], s[sgprShadowLimitB+0], BufferLimitB // Move shadow to real if we are within 2^32
s_mul_hi_u32 s35, s[sgprStrideBK], s[sgprWorkGroup2] // Stride*WG
s_mul_i32 s34, s[sgprStrideBK], s[sgprWorkGroup2]  // Stride*WG
s_add_u32 s64, s64, s34                            // accum wg term to tilestart
s_addc_u32 s65, s65, s35                           // accum wg term to tilestart
s_lshl_b64 s[64:65], s[64:65], 0x3                 // tileStart *= BPE
s_add_u32 s[sgprSrdB+0], s[sgprSrdB+0], s64        // SRD base = Address+ tileStart0
s_addc_u32 s[sgprSrdB+1], s[sgprSrdB+1], s65       // SRD base = Address+ tileStart1
s_mov_b32 s[sgprSrdB+3], Srd127_96                 // Set bits 127_96 in SRD


/* global read addresses: increments a */

s_mul_i32 s[sgprGlobalReadIncsA+0], DepthU*BpeA, s[sgprStrideAL] // incrA unrollIdx)


/* global read addresses: increments b */

s_mov_b32 s[sgprGlobalReadIncsB+0], DepthU*BpeB    // incrB (unrollIdx)

/* declare loop num iterations */


s_lshr_b32 s[sgprLoopCounterL], s[sgprSizesSum+0], 5 // s[sgprLoopCounterL] = s[sgprSizesSum+0] / 32
s_mov_b32 s[sgprOrigLoopCounter], s[sgprLoopCounterL] // copy loop counter

/* local read addresses: init pointers a */


/* localReadInitPointers */

/* local read addresses: init pointers b */


/* localReadInitPointers */


/* prefetch: global -> local */

s_cmp_eq_u32 s[sgprLoopCounterL], 0                // at last iteration?
s_cbranch_scc1 ShadowInitStart_10                  // skip to ShadowInitStart iter b/c numIter==0


_buffer_load_b128 v[vgprG2LA+0:vgprG2LA+0+3], v[vgprGlobalReadOffsetA+0], s[sgprSrdA:sgprSrdA+3], 0, offen offset:0 // G -> Reg 0_0_0_0
_buffer_load_b128 v[vgprG2LA+4:vgprG2LA+4+3], v[vgprGlobalReadOffsetA+0], s[sgprSrdA:sgprSrdA+3], s[sgprScalarGlobalReadOffsetA+0], offen offset:0 // G -> Reg 0_0_1_0
_buffer_load_b128 v[vgprG2LA+8:vgprG2LA+8+3], v[vgprGlobalReadOffsetA+0], s[sgprSrdA:sgprSrdA+3], s[sgprScalarGlobalReadOffsetA+1], offen offset:0 // G -> Reg 0_0_2_0
_buffer_load_b128 v[vgprG2LA+12:vgprG2LA+12+3], v[vgprGlobalReadOffsetA+0], s[sgprSrdA:sgprSrdA+3], s[sgprScalarGlobalReadOffsetA+2], offen offset:0 // G -> Reg 0_0_3_0


_buffer_load_b64 v[vgprG2LB+0:vgprG2LB+0+1], v[vgprGlobalReadOffsetB+0], s[sgprSrdB:sgprSrdB+3], 0, offen offset:0 // G -> Reg 0_0_0_0
_buffer_load_b64 v[vgprG2LB+2:vgprG2LB+2+1], v[vgprGlobalReadOffsetB+0], s[sgprSrdB:sgprSrdB+3], s[sgprScalarGlobalReadOffsetB+0], offen offset:0 // G -> Reg 0_0_1_0
_buffer_load_b64 v[vgprG2LB+4:vgprG2LB+4+1], v[vgprGlobalReadOffsetB+0], s[sgprSrdB:sgprSrdB+3], s[sgprScalarGlobalReadOffsetB+1], offen offset:0 // G -> Reg 0_0_2_0
_buffer_load_b64 v[vgprG2LB+6:vgprG2LB+6+1], v[vgprGlobalReadOffsetB+0], s[sgprSrdB:sgprSrdB+3], s[sgprScalarGlobalReadOffsetB+2], offen offset:0 // G -> Reg 0_0_3_0
_buffer_load_b64 v[vgprG2LB+8:vgprG2LB+8+1], v[vgprGlobalReadOffsetB+0], s[sgprSrdB:sgprSrdB+3], s[sgprScalarGlobalReadOffsetB+3], offen offset:0 // G -> Reg 0_0_4_0
_buffer_load_b64 v[vgprG2LB+10:vgprG2LB+10+1], v[vgprGlobalReadOffsetB+0], s[sgprSrdB:sgprSrdB+3], s[sgprScalarGlobalReadOffsetB+4], offen offset:0 // G -> Reg 0_0_5_0
_buffer_load_b64 v[vgprG2LB+12:vgprG2LB+12+1], v[vgprGlobalReadOffsetB+0], s[sgprSrdB:sgprSrdB+3], s[sgprScalarGlobalReadOffsetB+5], offen offset:0 // G -> Reg 0_0_6_0
_buffer_load_b64 v[vgprG2LB+14:vgprG2LB+14+1], v[vgprGlobalReadOffsetB+0], s[sgprSrdB:sgprSrdB+3], s[sgprScalarGlobalReadOffsetB+6], offen offset:0 // G -> Reg 0_0_7_0


/* global read inc A loopL */
s_add_u32 s[sgprSrdA+0], s[sgprSrdA+0], s[sgprGlobalReadIncsA+0] // gra SRD += inc(lower)
s_addc_u32  s[sgprSrdA+1], s[sgprSrdA+1], 0        // gra SRD += inc(upper)
s_sub_u32 s[sgprShadowLimitA+0], s[sgprShadowLimitA+0], s[sgprGlobalReadIncsA+0] // limit -= inc)
s_subb_u32 s[sgprShadowLimitA+1], s[sgprShadowLimitA+1], 0 // limit -= inc)
s_cmp_eq_u32 s[sgprShadowLimitA+1], 0              // are we within 2^32?
s_cmov_b32 s[sgprSrdA+2], s[sgprShadowLimitA+0]    // Move shadow to real if we are within 2^32

/* global read inc B loopL */
s_add_u32 s[sgprSrdB+0], s[sgprSrdB+0], s[sgprGlobalReadIncsB+0] // gra SRD += inc(lower)
s_addc_u32  s[sgprSrdB+1], s[sgprSrdB+1], 0        // gra SRD += inc(upper)
s_sub_u32 s[sgprShadowLimitB+0], s[sgprShadowLimitB+0], s[sgprGlobalReadIncsB+0] // limit -= inc)
s_subb_u32 s[sgprShadowLimitB+1], s[sgprShadowLimitB+1], 0 // limit -= inc)
s_cmp_eq_u32 s[sgprShadowLimitB+1], 0              // are we within 2^32?
s_cmov_b32 s[sgprSrdB+2], s[sgprShadowLimitB+0]    // Move shadow to real if we are within 2^32


/******************************************/
/* End setupNewTile, isPap=False             */
/******************************************/

ShadowInitStart_10: // 

s_mov_b32 s[sgprSrdD+2], BufferOOB                 // 
s_mov_b32 s[sgprSrdD+3], Srd127_96                 // Set bits 127_96 in post-loop SRD

s_mov_b32 s[sgprSrdC+2], BufferOOB                 // 
s_mov_b32 s[sgprSrdC+3], Srd127_96                 // Set bits 127_96 in post-loop SRD


s_mul_i32 s66, MT1, s[sgprWorkGroup1]              // <- wg1*MT1
s_mul_hi_u32 s65, s66, s[sgprStrideC1J]            // CScale s66 by Stride
s_mul_i32 s64, s66, s[sgprStrideC1J]               // CScale s66 by Stride
s_lshl_b64 s[64:65], s[64:65], 3                   // scale by bpe
s_add_u32 s[sgprSrdC+0], s[sgprSrdC+0], s64        // add lo to SRD
s_addc_u32 s[sgprSrdC+1], s[sgprSrdC+1], s65       // add hi to SRD
s_mul_hi_u32 s65, s66, s[sgprStrideD1J]            // Scale s66 by Stride
s_mul_i32 s64, s66, s[sgprStrideD1J]               // Scale s66 by Stride
s_lshl_b64 s[64:65], s[64:65], 3                   // scale by bpe
s_add_u32 s[sgprSrdD+0], s[sgprSrdD+0], s64        // add lo to SRD
s_addc_u32 s[sgprSrdD+1], s[sgprSrdD+1], s65       // add hi to SRD

s_mul_hi_u32 s65, s[sgprWorkGroup2], s[sgprStrideCK] // CScale s[sgprWorkGroup2] by Stride
s_mul_i32 s64, s[sgprWorkGroup2], s[sgprStrideCK]  // CScale s[sgprWorkGroup2] by Stride
s_lshl_b64 s[64:65], s[64:65], 3                   // scale by bpe
s_add_u32 s[sgprSrdC+0], s[sgprSrdC+0], s64        // add lo to SRD
s_addc_u32 s[sgprSrdC+1], s[sgprSrdC+1], s65       // add hi to SRD
s_mul_hi_u32 s65, s[sgprWorkGroup2], s[sgprStrideDK] // Scale s[sgprWorkGroup2] by Stride
s_mul_i32 s64, s[sgprWorkGroup2], s[sgprStrideDK]  // Scale s[sgprWorkGroup2] by Stride
s_lshl_b64 s[64:65], s[64:65], 3                   // scale by bpe
s_add_u32 s[sgprSrdD+0], s[sgprSrdD+0], s64        // add lo to SRD
s_addc_u32 s[sgprSrdD+1], s[sgprSrdD+1], s65       // add hi to SRD


	;; [unrolled: 1-line block ×3, first 2 shown]
/* initC: remove C-tile 0-32 from pool */

/* initC: remove AB-tile 32-112 from pool */
v_mov_b64 v[vgprValuC+0:vgprValuC+0+1], 0x0        // initC
v_mov_b64 v[vgprValuC+2:vgprValuC+2+1], 0x0        // initC
	;; [unrolled: 1-line block ×5, first 2 shown]
v_mov_b64 v[vgprValuC+10:vgprValuC+10+1], 0x0      // initC
v_mov_b64 v[vgprValuC+12:vgprValuC+12+1], 0x0      // initC
	;; [unrolled: 1-line block ×11, first 2 shown]

s_cmp_eq_u32 s[sgprLoopCounterL], 0                // at last iteration?

/* after InitC, skip to end of prefetch last iter if numIter==0 */
s_cbranch_scc0 label_NoBranch_11                   // Only branch on scc1
s_getpc_B64 s[64:65]                               // addr of next instr
s_add_i32 s66, PrefetchGlobalLastIterEnd_5, 0x4    // target branch offset
s_add_u32 s64, s64, s66                            // add target branch offset
s_addc_u32 s65, s65, 0                             // add high and carry
s_setpc_b64 s[64:65]                               // branch to PrefetchGlobalLastIterEnd_5
label_NoBranch_11:

s_waitcnt vmcnt(0)                                 // lgkmcnt=-1 vmcnt=0 8wait for global read


/* local write a */
_ds_store_b128 v[vgprLocalWriteAddrA], v[vgprG2LA+0:vgprG2LA+0+3] offset:0 // lwoA_0_0_0_0 = (0*LSCA) + (0*LSPA)(*MT0I+PAD) = 0
_ds_store_b128 v[vgprLocalWriteAddrA], v[vgprG2LA+4:vgprG2LA+4+3] offset:4096 // lwoA_0_0_1_0 = (0*LSCA) + (1*LSPA)(*MT0I+PAD) = 4096
_ds_store_b128 v[vgprLocalWriteAddrA], v[vgprG2LA+8:vgprG2LA+8+3] offset:8192 // lwoA_0_0_2_0 = (0*LSCA) + (2*LSPA)(*MT0I+PAD) = 8192
_ds_store_b128 v[vgprLocalWriteAddrA], v[vgprG2LA+12:vgprG2LA+12+3] offset:12288 // lwoA_0_0_3_0 = (0*LSCA) + (3*LSPA)(*MT0I+PAD) = 12288

/* local write b */
_ds_store_b64 v[vgprLocalWriteAddrB], v[vgprG2LB+0:vgprG2LB+0+1] offset:0 // lwoB_0_0_0_0 = (0*LSCB)*(MT1J+PAD) + (0*LSPB) = 0
_ds_store_b64 v[vgprLocalWriteAddrB], v[vgprG2LB+2:vgprG2LB+2+1] offset:2112 // lwoB_0_0_1_0 = (0*LSCB)*(MT1J+PAD) + (1*LSPB) = 2112
_ds_store_b64 v[vgprLocalWriteAddrB], v[vgprG2LB+4:vgprG2LB+4+1] offset:4224 // lwoB_0_0_2_0 = (0*LSCB)*(MT1J+PAD) + (2*LSPB) = 4224
_ds_store_b64 v[vgprLocalWriteAddrB], v[vgprG2LB+6:vgprG2LB+6+1] offset:6336 // lwoB_0_0_3_0 = (0*LSCB)*(MT1J+PAD) + (3*LSPB) = 6336
_ds_store_b64 v[vgprLocalWriteAddrB], v[vgprG2LB+8:vgprG2LB+8+1] offset:8448 // lwoB_0_0_4_0 = (0*LSCB)*(MT1J+PAD) + (4*LSPB) = 8448
_ds_store_b64 v[vgprLocalWriteAddrB], v[vgprG2LB+10:vgprG2LB+10+1] offset:10560 // lwoB_0_0_5_0 = (0*LSCB)*(MT1J+PAD) + (5*LSPB) = 10560
_ds_store_b64 v[vgprLocalWriteAddrB], v[vgprG2LB+12:vgprG2LB+12+1] offset:12672 // lwoB_0_0_6_0 = (0*LSCB)*(MT1J+PAD) + (6*LSPB) = 12672
_ds_store_b64 v[vgprLocalWriteAddrB], v[vgprG2LB+14:vgprG2LB+14+1] offset:14784 // lwoB_0_0_7_0 = (0*LSCB)*(MT1J+PAD) + (7*LSPB) = 14784


/* local write swap a */


	;; [unrolled: 1-line block ×3, first 2 shown]
/* local write swap b */


	;; [unrolled: 1-line block ×4, first 2 shown]
s_cmp_eq_u32 s[sgprLoopCounterL] 0x1               // PGR=2 but only 1 loop
s_cbranch_scc1 label_0012                          // PGR=2 but only 1 loop


_buffer_load_b128 v[vgprG2LA+0:vgprG2LA+0+3], v[vgprGlobalReadOffsetA+0], s[sgprSrdA:sgprSrdA+3], 0, offen offset:0 // G -> Reg 0_0_0_0
_buffer_load_b128 v[vgprG2LA+4:vgprG2LA+4+3], v[vgprGlobalReadOffsetA+0], s[sgprSrdA:sgprSrdA+3], s[sgprScalarGlobalReadOffsetA+0], offen offset:0 // G -> Reg 0_0_1_0
_buffer_load_b128 v[vgprG2LA+8:vgprG2LA+8+3], v[vgprGlobalReadOffsetA+0], s[sgprSrdA:sgprSrdA+3], s[sgprScalarGlobalReadOffsetA+1], offen offset:0 // G -> Reg 0_0_2_0
_buffer_load_b128 v[vgprG2LA+12:vgprG2LA+12+3], v[vgprGlobalReadOffsetA+0], s[sgprSrdA:sgprSrdA+3], s[sgprScalarGlobalReadOffsetA+2], offen offset:0 // G -> Reg 0_0_3_0


_buffer_load_b64 v[vgprG2LB+0:vgprG2LB+0+1], v[vgprGlobalReadOffsetB+0], s[sgprSrdB:sgprSrdB+3], 0, offen offset:0 // G -> Reg 0_0_0_0
_buffer_load_b64 v[vgprG2LB+2:vgprG2LB+2+1], v[vgprGlobalReadOffsetB+0], s[sgprSrdB:sgprSrdB+3], s[sgprScalarGlobalReadOffsetB+0], offen offset:0 // G -> Reg 0_0_1_0
_buffer_load_b64 v[vgprG2LB+4:vgprG2LB+4+1], v[vgprGlobalReadOffsetB+0], s[sgprSrdB:sgprSrdB+3], s[sgprScalarGlobalReadOffsetB+1], offen offset:0 // G -> Reg 0_0_2_0
_buffer_load_b64 v[vgprG2LB+6:vgprG2LB+6+1], v[vgprGlobalReadOffsetB+0], s[sgprSrdB:sgprSrdB+3], s[sgprScalarGlobalReadOffsetB+2], offen offset:0 // G -> Reg 0_0_3_0
_buffer_load_b64 v[vgprG2LB+8:vgprG2LB+8+1], v[vgprGlobalReadOffsetB+0], s[sgprSrdB:sgprSrdB+3], s[sgprScalarGlobalReadOffsetB+3], offen offset:0 // G -> Reg 0_0_4_0
_buffer_load_b64 v[vgprG2LB+10:vgprG2LB+10+1], v[vgprGlobalReadOffsetB+0], s[sgprSrdB:sgprSrdB+3], s[sgprScalarGlobalReadOffsetB+4], offen offset:0 // G -> Reg 0_0_5_0
_buffer_load_b64 v[vgprG2LB+12:vgprG2LB+12+1], v[vgprGlobalReadOffsetB+0], s[sgprSrdB:sgprSrdB+3], s[sgprScalarGlobalReadOffsetB+5], offen offset:0 // G -> Reg 0_0_6_0
_buffer_load_b64 v[vgprG2LB+14:vgprG2LB+14+1], v[vgprGlobalReadOffsetB+0], s[sgprSrdB:sgprSrdB+3], s[sgprScalarGlobalReadOffsetB+6], offen offset:0 // G -> Reg 0_0_7_0

label_0012:                                        // 

s_waitcnt lgkmcnt(0)                               // lgkmcnt=0 vmcnt=-10prefetch wait for local write

// Skip force waitcnt0
s_barrier //


/* local read prefetch a */

_ds_load_b64 v[vgprValuA_X0_I0+0:vgprValuA_X0_I0+0+1], v[vgprLocalReadAddrA] offset:0 // L -> Reg lro=0 swapByteOffset=0 ti=64 vIdx=0 rIdx=0 oIdx=0 buffer=0 iui=0


/* local read prefetch b */

_ds_load_b64 v[vgprValuB_X0_I0+0:vgprValuB_X0_I0+0+1], v[vgprLocalReadAddrB] offset:0 // L -> Reg lro=0 swapByteOffset=0 ti=16 vIdx=0 rIdx=0 oIdx=0 buffer=0 iui=0
_ds_load_b64 v[vgprValuB_X0_I0+2:vgprValuB_X0_I0+2+1], v[vgprLocalReadAddrB] offset:4224 // L -> Reg lro=0 swapByteOffset=0 ti=16 vIdx=1 rIdx=0 oIdx=0 buffer=0 iui=0
	;; [unrolled: 1-line block ×4, first 2 shown]


/* local read inc a */

/* N/A, lro->256 */
/* self.localReadDoCntA 1 self.localReadDoCntB 1 */


/* local read inc b */

/* N/A, lro->4 */
/* self.localReadDoCntA 1 self.localReadDoCntB 1 */


	;; [unrolled: 1-line block ×3, first 2 shown]
/******************************************/
/* Unrolled Loop(s) - Begin               */
/******************************************/

openLoopL_13:
s_cmp_eq_u32 s[sgprLoopCounterL], 0x1              // LoopCounterL < EndCounter
s_cbranch_scc1 label_0014                          // PGR=2 but only 1 loop, toPGR1
s_cmp_le_u32 s[sgprLoopCounterL], 0x2              // LoopCounterL < EndCounter
s_cbranch_scc1 LoopEndL_evenexit_4                 // do not enter LoopL
LoopBeginL_1:


/******************************************/
/* Unrolled Loop 1/2 - Begin              */
/******************************************/

label_0015: // LoopCopy1 


/* Begin Each Unroll: Check VGPR.checkin for INT8 LW */


	;; [unrolled: 1-line block ×3, first 2 shown]
/* iter 0 */

/*  grEndMfmaIndex:4, lwStartMfmaIndex:24, lwEndMfmaIndex:120  */
/*  numMfmaForLR:5, barrierMfmaIndex:122, LocalWritePerMfma:0.115 */
/*  mfmaIndex:0  */
s_waitcnt lgkmcnt(0)                               // lgkmcnt=0 vmcnt=-1wait for prior local read local write old=0, new=0 newLW=0 newLR=0
v_add_f32 v151, -v[vgprValuA_X0_I0+0+0+0+1], 0     // Ai=-Ai
v_mfma_f32_16x16x4_f32 v[0+0:3+0], v[vgprValuB_X0_I0+0+0+0], v[vgprValuA_X0_I0+0+0+0], v[0:3]
 // Cr += Ar*Br
/*  mfmaIndex:1  */
_ds_load_b64 v[vgprValuA_X1_I0+0:vgprValuA_X1_I0+0+1], v[vgprLocalReadAddrA] offset:2048 // L -> Reg lro=256 swapByteOffset=0 ti=64 vIdx=0 rIdx=0 oIdx=0 buffer=1 iui=0
_ds_load_b64 v[vgprValuB_X1_I0+0:vgprValuB_X1_I0+0+1], v[vgprLocalReadAddrB] offset:32 // L -> Reg lro=4 swapByteOffset=0 ti=16 vIdx=0 rIdx=0 oIdx=0 buffer=1 iui=0

/* global read inc A loopL */
s_add_u32 s[sgprSrdA+0], s[sgprSrdA+0], s[sgprGlobalReadIncsA+0] // gra SRD += inc(lower)
s_addc_u32  s[sgprSrdA+1], s[sgprSrdA+1], 0        // gra SRD += inc(upper)
s_sub_u32 s[sgprShadowLimitA+0], s[sgprShadowLimitA+0], s[sgprGlobalReadIncsA+0] // limit -= inc)
v_mfma_f32_16x16x4_f32 v[16+0:19+0], v[vgprValuB_X0_I0+0+0+0], v[vgprValuA_X0_I0+0+0+0+1], v[16:19]
 // Ci += Ai*Br
/*  mfmaIndex:2  */
_ds_load_b64 v[vgprValuB_X1_I0+2:vgprValuB_X1_I0+2+1], v[vgprLocalReadAddrB] offset:4256 // L -> Reg lro=4 swapByteOffset=0 ti=16 vIdx=1 rIdx=0 oIdx=0 buffer=1 iui=0
_ds_load_b64 v[vgprValuB_X1_I0+4:vgprValuB_X1_I0+4+1], v[vgprLocalReadAddrB] offset:8480 // L -> Reg lro=4 swapByteOffset=0 ti=16 vIdx=2 rIdx=0 oIdx=0 buffer=1 iui=0
s_subb_u32 s[sgprShadowLimitA+1], s[sgprShadowLimitA+1], 0 // limit -= inc)
s_cmp_eq_u32 s[sgprShadowLimitA+1], 0              // are we within 2^32?
s_cmov_b32 s[sgprSrdA+2], s[sgprShadowLimitA+0]    // Move shadow to real if we are within 2^32
v_mfma_f32_16x16x4_f32 v[0+0:3+0], v[vgprValuB_X0_I0+0+0+0+1], v151, v[0:3]
 // Cr += -Ai*Bi
/*  mfmaIndex:3  */
_ds_load_b64 v[vgprValuB_X1_I0+6:vgprValuB_X1_I0+6+1], v[vgprLocalReadAddrB] offset:12704 // L -> Reg lro=4 swapByteOffset=0 ti=16 vIdx=3 rIdx=0 oIdx=0 buffer=1 iui=0
/* localReadsVacancy: latencyLeft 3 */
_ds_load_b64 v[vgprValuA_X2_I0+0:vgprValuA_X2_I0+0+1], v[vgprLocalReadAddrA] offset:4096 // L -> Reg lro=512 swapByteOffset=0 ti=64 vIdx=0 rIdx=0 oIdx=0 buffer=2 iui=0

/* global read inc B loopL */
s_add_u32 s[sgprSrdB+0], s[sgprSrdB+0], s[sgprGlobalReadIncsB+0] // gra SRD += inc(lower)
s_addc_u32  s[sgprSrdB+1], s[sgprSrdB+1], 0        // gra SRD += inc(upper)
s_sub_u32 s[sgprShadowLimitB+0], s[sgprShadowLimitB+0], s[sgprGlobalReadIncsB+0] // limit -= inc)
v_mfma_f32_16x16x4_f32 v[16+0:19+0], v[vgprValuB_X0_I0+0+0+0+1], v[vgprValuA_X0_I0+0+0+0], v[16:19]
 // Ci += Ar*Bi
/*  mfmaIndex:4  */
/* localReadsVacancy: latencyLeft 5 */
_ds_load_b64 v[vgprValuB_X2_I0+0:vgprValuB_X2_I0+0+1], v[vgprLocalReadAddrB] offset:64 // L -> Reg lro=8 swapByteOffset=0 ti=16 vIdx=0 rIdx=0 oIdx=0 buffer=2 iui=0
_ds_load_b64 v[vgprValuB_X2_I0+2:vgprValuB_X2_I0+2+1], v[vgprLocalReadAddrB] offset:4288 // L -> Reg lro=8 swapByteOffset=0 ti=16 vIdx=1 rIdx=0 oIdx=0 buffer=2 iui=0
s_subb_u32 s[sgprShadowLimitB+1], s[sgprShadowLimitB+1], 0 // limit -= inc)
s_cmp_eq_u32 s[sgprShadowLimitB+1], 0              // are we within 2^32?
s_cmov_b32 s[sgprSrdB+2], s[sgprShadowLimitB+0]    // Move shadow to real if we are within 2^32
v_mfma_f32_16x16x4_f32 v[4+0:7+0], v[vgprValuB_X0_I0+2+0+0], v[vgprValuA_X0_I0+0+0+0], v[4:7]
 // Cr += Ar*Br
/*  mfmaIndex:5  */
/* localReadsVacancy: latencyLeft 5 */
_ds_load_b64 v[vgprValuB_X2_I0+4:vgprValuB_X2_I0+4+1], v[vgprLocalReadAddrB] offset:8512 // L -> Reg lro=8 swapByteOffset=0 ti=16 vIdx=2 rIdx=0 oIdx=0 buffer=2 iui=0
_ds_load_b64 v[vgprValuB_X2_I0+6:vgprValuB_X2_I0+6+1], v[vgprLocalReadAddrB] offset:12736 // L -> Reg lro=8 swapByteOffset=0 ti=16 vIdx=3 rIdx=0 oIdx=0 buffer=2 iui=0
v_mfma_f32_16x16x4_f32 v[20+0:23+0], v[vgprValuB_X0_I0+2+0+0], v[vgprValuA_X0_I0+0+0+0+1], v[20:23]
 // Ci += Ai*Br
/*  mfmaIndex:6  */
/* localReadsVacancy: latencyLeft 5 */
_ds_load_b64 v[vgprValuA_X3_I0+0:vgprValuA_X3_I0+0+1], v[vgprLocalReadAddrA] offset:6144 // L -> Reg lro=768 swapByteOffset=0 ti=64 vIdx=0 rIdx=0 oIdx=0 buffer=3 iui=0
_ds_load_b64 v[vgprValuB_X3_I0+0:vgprValuB_X3_I0+0+1], v[vgprLocalReadAddrB] offset:96 // L -> Reg lro=12 swapByteOffset=0 ti=16 vIdx=0 rIdx=0 oIdx=0 buffer=3 iui=0
v_mfma_f32_16x16x4_f32 v[4+0:7+0], v[vgprValuB_X0_I0+2+0+0+1], v151, v[4:7]
 // Cr += -Ai*Bi
/*  mfmaIndex:7  */
/* localReadsVacancy: latencyLeft 5 */
_ds_load_b64 v[vgprValuB_X3_I0+2:vgprValuB_X3_I0+2+1], v[vgprLocalReadAddrB] offset:4320 // L -> Reg lro=12 swapByteOffset=0 ti=16 vIdx=1 rIdx=0 oIdx=0 buffer=3 iui=0
_ds_load_b64 v[vgprValuB_X3_I0+4:vgprValuB_X3_I0+4+1], v[vgprLocalReadAddrB] offset:8544 // L -> Reg lro=12 swapByteOffset=0 ti=16 vIdx=2 rIdx=0 oIdx=0 buffer=3 iui=0
v_mfma_f32_16x16x4_f32 v[20+0:23+0], v[vgprValuB_X0_I0+2+0+0+1], v[vgprValuA_X0_I0+0+0+0], v[20:23]
 // Ci += Ar*Bi
/*  mfmaIndex:8  */
/* localReadsVacancy: latencyLeft 5 */
_ds_load_b64 v[vgprValuB_X3_I0+6:vgprValuB_X3_I0+6+1], v[vgprLocalReadAddrB] offset:12768 // L -> Reg lro=12 swapByteOffset=0 ti=16 vIdx=3 rIdx=0 oIdx=0 buffer=3 iui=0
_ds_load_b64 v[vgprValuA_X4_I0+0:vgprValuA_X4_I0+0+1], v[vgprLocalReadAddrA] offset:8192 // L -> Reg lro=1024 swapByteOffset=0 ti=64 vIdx=0 rIdx=0 oIdx=0 buffer=4 iui=0
v_mfma_f32_16x16x4_f32 v[8+0:11+0], v[vgprValuB_X0_I0+4+0+0], v[vgprValuA_X0_I0+0+0+0], v[8:11]
 // Cr += Ar*Br
/*  mfmaIndex:9  */
/* localReadsVacancy: latencyLeft 5 */
_ds_load_b64 v[vgprValuB_X4_I0+0:vgprValuB_X4_I0+0+1], v[vgprLocalReadAddrB] offset:128 // L -> Reg lro=16 swapByteOffset=0 ti=16 vIdx=0 rIdx=0 oIdx=0 buffer=4 iui=0
_ds_load_b64 v[vgprValuB_X4_I0+2:vgprValuB_X4_I0+2+1], v[vgprLocalReadAddrB] offset:4352 // L -> Reg lro=16 swapByteOffset=0 ti=16 vIdx=1 rIdx=0 oIdx=0 buffer=4 iui=0
v_mfma_f32_16x16x4_f32 v[24+0:27+0], v[vgprValuB_X0_I0+4+0+0], v[vgprValuA_X0_I0+0+0+0+1], v[24:27]
 // Ci += Ai*Br
/*  mfmaIndex:10  */
/* localReadsVacancy: latencyLeft 5 */
_ds_load_b64 v[vgprValuB_X4_I0+4:vgprValuB_X4_I0+4+1], v[vgprLocalReadAddrB] offset:8576 // L -> Reg lro=16 swapByteOffset=0 ti=16 vIdx=2 rIdx=0 oIdx=0 buffer=4 iui=0
_ds_load_b64 v[vgprValuB_X4_I0+6:vgprValuB_X4_I0+6+1], v[vgprLocalReadAddrB] offset:12800 // L -> Reg lro=16 swapByteOffset=0 ti=16 vIdx=3 rIdx=0 oIdx=0 buffer=4 iui=0
v_mfma_f32_16x16x4_f32 v[8+0:11+0], v[vgprValuB_X0_I0+4+0+0+1], v151, v[8:11]
 // Cr += -Ai*Bi
/*  mfmaIndex:11  */
/* localReadsVacancy: latencyLeft 5 */
_ds_load_b64 v[vgprValuA_X5_I0+0:vgprValuA_X5_I0+0+1], v[vgprLocalReadAddrA] offset:10240 // L -> Reg lro=1280 swapByteOffset=0 ti=64 vIdx=0 rIdx=0 oIdx=0 buffer=5 iui=0
_ds_load_b64 v[vgprValuB_X5_I0+0:vgprValuB_X5_I0+0+1], v[vgprLocalReadAddrB] offset:160 // L -> Reg lro=20 swapByteOffset=0 ti=16 vIdx=0 rIdx=0 oIdx=0 buffer=5 iui=0
v_mfma_f32_16x16x4_f32 v[24+0:27+0], v[vgprValuB_X0_I0+4+0+0+1], v[vgprValuA_X0_I0+0+0+0], v[24:27]
 // Ci += Ar*Bi
/*  mfmaIndex:12  */
/* localReadsVacancy: latencyLeft 5 */
_ds_load_b64 v[vgprValuB_X5_I0+2:vgprValuB_X5_I0+2+1], v[vgprLocalReadAddrB] offset:4384 // L -> Reg lro=20 swapByteOffset=0 ti=16 vIdx=1 rIdx=0 oIdx=0 buffer=5 iui=0
_ds_load_b64 v[vgprValuB_X5_I0+4:vgprValuB_X5_I0+4+1], v[vgprLocalReadAddrB] offset:8608 // L -> Reg lro=20 swapByteOffset=0 ti=16 vIdx=2 rIdx=0 oIdx=0 buffer=5 iui=0
v_mfma_f32_16x16x4_f32 v[12+0:15+0], v[vgprValuB_X0_I0+6+0+0], v[vgprValuA_X0_I0+0+0+0], v[12:15]
 // Cr += Ar*Br
/*  mfmaIndex:13  */
/* localReadsVacancy: latencyLeft 5 */
_ds_load_b64 v[vgprValuB_X5_I0+6:vgprValuB_X5_I0+6+1], v[vgprLocalReadAddrB] offset:12832 // L -> Reg lro=20 swapByteOffset=0 ti=16 vIdx=3 rIdx=0 oIdx=0 buffer=5 iui=0
_ds_load_b64 v[vgprValuA_X6_I0+0:vgprValuA_X6_I0+0+1], v[vgprLocalReadAddrA] offset:12288 // L -> Reg lro=1536 swapByteOffset=0 ti=64 vIdx=0 rIdx=0 oIdx=0 buffer=6 iui=0
v_mfma_f32_16x16x4_f32 v[28+0:31+0], v[vgprValuB_X0_I0+6+0+0], v[vgprValuA_X0_I0+0+0+0+1], v[28:31]
 // Ci += Ai*Br
/*  mfmaIndex:14  */
/* localReadsVacancy: latencyLeft 5 */
_ds_load_b64 v[vgprValuB_X6_I0+0:vgprValuB_X6_I0+0+1], v[vgprLocalReadAddrB] offset:192 // L -> Reg lro=24 swapByteOffset=0 ti=16 vIdx=0 rIdx=0 oIdx=0 buffer=6 iui=0
_ds_load_b64 v[vgprValuB_X6_I0+2:vgprValuB_X6_I0+2+1], v[vgprLocalReadAddrB] offset:4416 // L -> Reg lro=24 swapByteOffset=0 ti=16 vIdx=1 rIdx=0 oIdx=0 buffer=6 iui=0
v_mfma_f32_16x16x4_f32 v[12+0:15+0], v[vgprValuB_X0_I0+6+0+0+1], v151, v[12:15]
 // Cr += -Ai*Bi
/*  mfmaIndex:15  */
/* localReadsVacancy: latencyLeft 5 */
_ds_load_b64 v[vgprValuB_X6_I0+4:vgprValuB_X6_I0+4+1], v[vgprLocalReadAddrB] offset:8640 // L -> Reg lro=24 swapByteOffset=0 ti=16 vIdx=2 rIdx=0 oIdx=0 buffer=6 iui=0
_ds_load_b64 v[vgprValuB_X6_I0+6:vgprValuB_X6_I0+6+1], v[vgprLocalReadAddrB] offset:12864 // L -> Reg lro=24 swapByteOffset=0 ti=16 vIdx=3 rIdx=0 oIdx=0 buffer=6 iui=0
v_mfma_f32_16x16x4_f32 v[28+0:31+0], v[vgprValuB_X0_I0+6+0+0+1], v[vgprValuA_X0_I0+0+0+0], v[28:31]
 // Ci += Ar*Bi
/* numPrefetchIter=0 */
/* dataAtIterA=-1 numReadsIterA=1 skipReadsIterA=1 readsPerIterA=1 */
/* dataAtIterB=-1 numReadsIterB=1 skipReadsIterB=1 readsPerIterB=4 */


/* iter 1 */

/*  grEndMfmaIndex:4, lwStartMfmaIndex:24, lwEndMfmaIndex:120  */
/*  numMfmaForLR:5, barrierMfmaIndex:122, LocalWritePerMfma:0.115 */
/*  mfmaIndex:16  */
/* localReadsVacancy: latencyLeft 5 */
_ds_load_b64 v[vgprValuA_X7_I0+0:vgprValuA_X7_I0+0+1], v[vgprLocalReadAddrA] offset:14336 // L -> Reg lro=1792 swapByteOffset=0 ti=64 vIdx=0 rIdx=0 oIdx=0 buffer=7 iui=0
_ds_load_b64 v[vgprValuB_X7_I0+0:vgprValuB_X7_I0+0+1], v[vgprLocalReadAddrB] offset:224 // L -> Reg lro=28 swapByteOffset=0 ti=16 vIdx=0 rIdx=0 oIdx=0 buffer=7 iui=0
s_waitcnt lgkmcnt(15)                              // lgkmcnt=0 vmcnt=-1wait for prior local read local write old=5, new=5 newLW=0 newLR=0
v_add_f32 v151, -v[vgprValuA_X1_I0+0+0+0+1], 0     // Ai=-Ai
v_mfma_f32_16x16x4_f32 v[0+0:3+0], v[vgprValuB_X1_I0+0+0+0], v[vgprValuA_X1_I0+0+0+0], v[0:3]
 // Cr += Ar*Br
/*  mfmaIndex:17  */
/* localReadsVacancy: latencyLeft 5 */
_ds_load_b64 v[vgprValuB_X7_I0+2:vgprValuB_X7_I0+2+1], v[vgprLocalReadAddrB] offset:4448 // L -> Reg lro=28 swapByteOffset=0 ti=16 vIdx=1 rIdx=0 oIdx=0 buffer=7 iui=0
_ds_load_b64 v[vgprValuB_X7_I0+4:vgprValuB_X7_I0+4+1], v[vgprLocalReadAddrB] offset:8672 // L -> Reg lro=28 swapByteOffset=0 ti=16 vIdx=2 rIdx=0 oIdx=0 buffer=7 iui=0
v_mfma_f32_16x16x4_f32 v[16+0:19+0], v[vgprValuB_X1_I0+0+0+0], v[vgprValuA_X1_I0+0+0+0+1], v[16:19]
 // Ci += Ai*Br
/*  mfmaIndex:18  */
/* localReadsVacancy: latencyLeft 5 */
_ds_load_b64 v[vgprValuB_X7_I0+6:vgprValuB_X7_I0+6+1], v[vgprLocalReadAddrB] offset:12896 // L -> Reg lro=28 swapByteOffset=0 ti=16 vIdx=3 rIdx=0 oIdx=0 buffer=7 iui=0
v_mfma_f32_16x16x4_f32 v[0+0:3+0], v[vgprValuB_X1_I0+0+0+0+1], v151, v[0:3]
 // Cr += -Ai*Bi
/*  mfmaIndex:19  */
/* localReadsVacancy: latencyLeft 5 */
v_mfma_f32_16x16x4_f32 v[16+0:19+0], v[vgprValuB_X1_I0+0+0+0+1], v[vgprValuA_X1_I0+0+0+0], v[16:19]
 // Ci += Ar*Bi
/*  mfmaIndex:20  */
/* localReadsVacancy: latencyLeft 5 */
v_mfma_f32_16x16x4_f32 v[4+0:7+0], v[vgprValuB_X1_I0+2+0+0], v[vgprValuA_X1_I0+0+0+0], v[4:7]
 // Cr += Ar*Br
/*  mfmaIndex:21  */
/* localReadsVacancy: latencyLeft 5 */
v_mfma_f32_16x16x4_f32 v[20+0:23+0], v[vgprValuB_X1_I0+2+0+0], v[vgprValuA_X1_I0+0+0+0+1], v[20:23]
 // Ci += Ai*Br
/*  mfmaIndex:22  */
/* localReadsVacancy: latencyLeft 5 */
v_mfma_f32_16x16x4_f32 v[4+0:7+0], v[vgprValuB_X1_I0+2+0+0+1], v151, v[4:7]
 // Cr += -Ai*Bi
/*  mfmaIndex:23  */
/* localReadsVacancy: latencyLeft 5 */
/* 1 LDS buffer: read-sync-write */
s_waitcnt lgkmcnt(0)                               // 
s_barrier                                          // 
v_mfma_f32_16x16x4_f32 v[20+0:23+0], v[vgprValuB_X1_I0+2+0+0+1], v[vgprValuA_X1_I0+0+0+0], v[20:23]
 // Ci += Ar*Bi
/*  mfmaIndex:24  */
/* sched write - iter 1 writesPerItem=1 */
s_waitcnt vmcnt(0)                                 // lgkmcnt=-1 vmcnt=0wait for global read before writing to local
_ds_store_b128 v[vgprLocalWriteAddrA], v[vgprG2LA+0:vgprG2LA+0+3] offset:0 // lwoA_0_0_0_0 = (0*LSCA) + (0*LSPA)(*MT0I+PAD) = 0
v_mfma_f32_16x16x4_f32 v[8+0:11+0], v[vgprValuB_X1_I0+4+0+0], v[vgprValuA_X1_I0+0+0+0], v[8:11]
 // Cr += Ar*Br
/*  mfmaIndex:25  */
_buffer_load_b128 v[vgprG2LA+0:vgprG2LA+0+3], v[vgprGlobalReadOffsetA+0], s[sgprSrdA:sgprSrdA+3], 0, offen offset:0 // G -> Reg 0_0_0_0
v_mfma_f32_16x16x4_f32 v[24+0:27+0], v[vgprValuB_X1_I0+4+0+0], v[vgprValuA_X1_I0+0+0+0+1], v[24:27]
 // Ci += Ai*Br
/*  mfmaIndex:26  */
v_mfma_f32_16x16x4_f32 v[8+0:11+0], v[vgprValuB_X1_I0+4+0+0+1], v151, v[8:11]
 // Cr += -Ai*Bi
/*  mfmaIndex:27  */
v_mfma_f32_16x16x4_f32 v[24+0:27+0], v[vgprValuB_X1_I0+4+0+0+1], v[vgprValuA_X1_I0+0+0+0], v[24:27]
 // Ci += Ar*Bi
/*  mfmaIndex:28  */
v_mfma_f32_16x16x4_f32 v[12+0:15+0], v[vgprValuB_X1_I0+6+0+0], v[vgprValuA_X1_I0+0+0+0], v[12:15]
 // Cr += Ar*Br
/*  mfmaIndex:29  */
v_mfma_f32_16x16x4_f32 v[28+0:31+0], v[vgprValuB_X1_I0+6+0+0], v[vgprValuA_X1_I0+0+0+0+1], v[28:31]
 // Ci += Ai*Br
/*  mfmaIndex:30  */
v_mfma_f32_16x16x4_f32 v[12+0:15+0], v[vgprValuB_X1_I0+6+0+0+1], v151, v[12:15]
 // Cr += -Ai*Bi
/*  mfmaIndex:31  */
v_mfma_f32_16x16x4_f32 v[28+0:31+0], v[vgprValuB_X1_I0+6+0+0+1], v[vgprValuA_X1_I0+0+0+0], v[28:31]
 // Ci += Ar*Bi
/* numPrefetchIter=0 */
/* dataAtIterA=0 numReadsIterA=2 skipReadsIterA=1 readsPerIterA=1 */
/* dataAtIterB=0 numReadsIterB=2 skipReadsIterB=1 readsPerIterB=4 */


/* iter 2 */

/*  grEndMfmaIndex:4, lwStartMfmaIndex:24, lwEndMfmaIndex:120  */
/*  numMfmaForLR:5, barrierMfmaIndex:122, LocalWritePerMfma:0.115 */
/*  mfmaIndex:32  */
/* sched write - iter 2 writesPerItem=1 */
s_waitcnt vmcnt(0)                                 // lgkmcnt=-1 vmcnt=0wait for global read before writing to local
_ds_store_b128 v[vgprLocalWriteAddrA], v[vgprG2LA+4:vgprG2LA+4+3] offset:4096 // lwoA_0_0_1_0 = (0*LSCA) + (1*LSPA)(*MT0I+PAD) = 4096
v_add_f32 v151, -v[vgprValuA_X2_I0+0+0+0+1], 0     // Ai=-Ai
v_mfma_f32_16x16x4_f32 v[0+0:3+0], v[vgprValuB_X2_I0+0+0+0], v[vgprValuA_X2_I0+0+0+0], v[0:3]
 // Cr += Ar*Br
/*  mfmaIndex:33  */
_buffer_load_b128 v[vgprG2LA+4:vgprG2LA+4+3], v[vgprGlobalReadOffsetA+0], s[sgprSrdA:sgprSrdA+3], s[sgprScalarGlobalReadOffsetA+0], offen offset:0 // G -> Reg 0_0_1_0
v_mfma_f32_16x16x4_f32 v[16+0:19+0], v[vgprValuB_X2_I0+0+0+0], v[vgprValuA_X2_I0+0+0+0+1], v[16:19]
 // Ci += Ai*Br
/*  mfmaIndex:34  */
v_mfma_f32_16x16x4_f32 v[0+0:3+0], v[vgprValuB_X2_I0+0+0+0+1], v151, v[0:3]
 // Cr += -Ai*Bi
/*  mfmaIndex:35  */
v_mfma_f32_16x16x4_f32 v[16+0:19+0], v[vgprValuB_X2_I0+0+0+0+1], v[vgprValuA_X2_I0+0+0+0], v[16:19]
 // Ci += Ar*Bi
/*  mfmaIndex:36  */
v_mfma_f32_16x16x4_f32 v[4+0:7+0], v[vgprValuB_X2_I0+2+0+0], v[vgprValuA_X2_I0+0+0+0], v[4:7]
 // Cr += Ar*Br
/*  mfmaIndex:37  */
v_mfma_f32_16x16x4_f32 v[20+0:23+0], v[vgprValuB_X2_I0+2+0+0], v[vgprValuA_X2_I0+0+0+0+1], v[20:23]
 // Ci += Ai*Br
/*  mfmaIndex:38  */
v_mfma_f32_16x16x4_f32 v[4+0:7+0], v[vgprValuB_X2_I0+2+0+0+1], v151, v[4:7]
 // Cr += -Ai*Bi
/*  mfmaIndex:39  */
v_mfma_f32_16x16x4_f32 v[20+0:23+0], v[vgprValuB_X2_I0+2+0+0+1], v[vgprValuA_X2_I0+0+0+0], v[20:23]
 // Ci += Ar*Bi
/*  mfmaIndex:40  */
v_mfma_f32_16x16x4_f32 v[8+0:11+0], v[vgprValuB_X2_I0+4+0+0], v[vgprValuA_X2_I0+0+0+0], v[8:11]
 // Cr += Ar*Br
/*  mfmaIndex:41  */
/* sched write - iter 2 writesPerItem=1 */
s_waitcnt vmcnt(0)                                 // lgkmcnt=-1 vmcnt=0wait for global read before writing to local
_ds_store_b128 v[vgprLocalWriteAddrA], v[vgprG2LA+8:vgprG2LA+8+3] offset:8192 // lwoA_0_0_2_0 = (0*LSCA) + (2*LSPA)(*MT0I+PAD) = 8192
v_mfma_f32_16x16x4_f32 v[24+0:27+0], v[vgprValuB_X2_I0+4+0+0], v[vgprValuA_X2_I0+0+0+0+1], v[24:27]
 // Ci += Ai*Br
/*  mfmaIndex:42  */
_buffer_load_b128 v[vgprG2LA+8:vgprG2LA+8+3], v[vgprGlobalReadOffsetA+0], s[sgprSrdA:sgprSrdA+3], s[sgprScalarGlobalReadOffsetA+1], offen offset:0 // G -> Reg 0_0_2_0
v_mfma_f32_16x16x4_f32 v[8+0:11+0], v[vgprValuB_X2_I0+4+0+0+1], v151, v[8:11]
 // Cr += -Ai*Bi
/*  mfmaIndex:43  */
v_mfma_f32_16x16x4_f32 v[24+0:27+0], v[vgprValuB_X2_I0+4+0+0+1], v[vgprValuA_X2_I0+0+0+0], v[24:27]
 // Ci += Ar*Bi
/*  mfmaIndex:44  */
v_mfma_f32_16x16x4_f32 v[12+0:15+0], v[vgprValuB_X2_I0+6+0+0], v[vgprValuA_X2_I0+0+0+0], v[12:15]
 // Cr += Ar*Br
/*  mfmaIndex:45  */
v_mfma_f32_16x16x4_f32 v[28+0:31+0], v[vgprValuB_X2_I0+6+0+0], v[vgprValuA_X2_I0+0+0+0+1], v[28:31]
 // Ci += Ai*Br
/*  mfmaIndex:46  */
v_mfma_f32_16x16x4_f32 v[12+0:15+0], v[vgprValuB_X2_I0+6+0+0+1], v151, v[12:15]
 // Cr += -Ai*Bi
/*  mfmaIndex:47  */
v_mfma_f32_16x16x4_f32 v[28+0:31+0], v[vgprValuB_X2_I0+6+0+0+1], v[vgprValuA_X2_I0+0+0+0], v[28:31]
 // Ci += Ar*Bi


/* iter 3 */

/*  grEndMfmaIndex:4, lwStartMfmaIndex:24, lwEndMfmaIndex:120  */
/*  numMfmaForLR:5, barrierMfmaIndex:122, LocalWritePerMfma:0.115 */
/*  mfmaIndex:48  */
v_add_f32 v151, -v[vgprValuA_X3_I0+0+0+0+1], 0     // Ai=-Ai
v_mfma_f32_16x16x4_f32 v[0+0:3+0], v[vgprValuB_X3_I0+0+0+0], v[vgprValuA_X3_I0+0+0+0], v[0:3]
 // Cr += Ar*Br
/*  mfmaIndex:49  */
v_mfma_f32_16x16x4_f32 v[16+0:19+0], v[vgprValuB_X3_I0+0+0+0], v[vgprValuA_X3_I0+0+0+0+1], v[16:19]
 // Ci += Ai*Br
/*  mfmaIndex:50  */
/* sched write - iter 3 writesPerItem=1 */
s_waitcnt vmcnt(0)                                 // lgkmcnt=-1 vmcnt=0wait for global read before writing to local
_ds_store_b128 v[vgprLocalWriteAddrA], v[vgprG2LA+12:vgprG2LA+12+3] offset:12288 // lwoA_0_0_3_0 = (0*LSCA) + (3*LSPA)(*MT0I+PAD) = 12288
v_mfma_f32_16x16x4_f32 v[0+0:3+0], v[vgprValuB_X3_I0+0+0+0+1], v151, v[0:3]
 // Cr += -Ai*Bi
/*  mfmaIndex:51  */
_buffer_load_b128 v[vgprG2LA+12:vgprG2LA+12+3], v[vgprGlobalReadOffsetA+0], s[sgprSrdA:sgprSrdA+3], s[sgprScalarGlobalReadOffsetA+2], offen offset:0 // G -> Reg 0_0_3_0
v_mfma_f32_16x16x4_f32 v[16+0:19+0], v[vgprValuB_X3_I0+0+0+0+1], v[vgprValuA_X3_I0+0+0+0], v[16:19]
 // Ci += Ar*Bi
/*  mfmaIndex:52  */
v_mfma_f32_16x16x4_f32 v[4+0:7+0], v[vgprValuB_X3_I0+2+0+0], v[vgprValuA_X3_I0+0+0+0], v[4:7]
 // Cr += Ar*Br
/*  mfmaIndex:53  */
v_mfma_f32_16x16x4_f32 v[20+0:23+0], v[vgprValuB_X3_I0+2+0+0], v[vgprValuA_X3_I0+0+0+0+1], v[20:23]
 // Ci += Ai*Br
/*  mfmaIndex:54  */
v_mfma_f32_16x16x4_f32 v[4+0:7+0], v[vgprValuB_X3_I0+2+0+0+1], v151, v[4:7]
 // Cr += -Ai*Bi
/*  mfmaIndex:55  */
v_mfma_f32_16x16x4_f32 v[20+0:23+0], v[vgprValuB_X3_I0+2+0+0+1], v[vgprValuA_X3_I0+0+0+0], v[20:23]
 // Ci += Ar*Bi
/*  mfmaIndex:56  */
v_mfma_f32_16x16x4_f32 v[8+0:11+0], v[vgprValuB_X3_I0+4+0+0], v[vgprValuA_X3_I0+0+0+0], v[8:11]
 // Cr += Ar*Br
/*  mfmaIndex:57  */
v_mfma_f32_16x16x4_f32 v[24+0:27+0], v[vgprValuB_X3_I0+4+0+0], v[vgprValuA_X3_I0+0+0+0+1], v[24:27]
 // Ci += Ai*Br
/*  mfmaIndex:58  */
/* sched write - iter 3 writesPerItem=1 */
s_waitcnt vmcnt(0)                                 // lgkmcnt=-1 vmcnt=0wait for global read before writing to local
_ds_store_b64 v[vgprLocalWriteAddrB], v[vgprG2LB+0:vgprG2LB+0+1] offset:0 // lwoB_0_0_0_0 = (0*LSCB)*(MT1J+PAD) + (0*LSPB) = 0
v_mfma_f32_16x16x4_f32 v[8+0:11+0], v[vgprValuB_X3_I0+4+0+0+1], v151, v[8:11]
 // Cr += -Ai*Bi
/*  mfmaIndex:59  */
_buffer_load_b64 v[vgprG2LB+0:vgprG2LB+0+1], v[vgprGlobalReadOffsetB+0], s[sgprSrdB:sgprSrdB+3], 0, offen offset:0 // G -> Reg 0_0_0_0
v_mfma_f32_16x16x4_f32 v[24+0:27+0], v[vgprValuB_X3_I0+4+0+0+1], v[vgprValuA_X3_I0+0+0+0], v[24:27]
 // Ci += Ar*Bi
/*  mfmaIndex:60  */
v_mfma_f32_16x16x4_f32 v[12+0:15+0], v[vgprValuB_X3_I0+6+0+0], v[vgprValuA_X3_I0+0+0+0], v[12:15]
 // Cr += Ar*Br
/*  mfmaIndex:61  */
v_mfma_f32_16x16x4_f32 v[28+0:31+0], v[vgprValuB_X3_I0+6+0+0], v[vgprValuA_X3_I0+0+0+0+1], v[28:31]
 // Ci += Ai*Br
/*  mfmaIndex:62  */
v_mfma_f32_16x16x4_f32 v[12+0:15+0], v[vgprValuB_X3_I0+6+0+0+1], v151, v[12:15]
 // Cr += -Ai*Bi
/*  mfmaIndex:63  */
v_mfma_f32_16x16x4_f32 v[28+0:31+0], v[vgprValuB_X3_I0+6+0+0+1], v[vgprValuA_X3_I0+0+0+0], v[28:31]
 // Ci += Ar*Bi


/* iter 4 */

/*  grEndMfmaIndex:4, lwStartMfmaIndex:24, lwEndMfmaIndex:120  */
/*  numMfmaForLR:5, barrierMfmaIndex:122, LocalWritePerMfma:0.115 */
/*  mfmaIndex:64  */
v_add_f32 v151, -v[vgprValuA_X4_I0+0+0+0+1], 0     // Ai=-Ai
v_mfma_f32_16x16x4_f32 v[0+0:3+0], v[vgprValuB_X4_I0+0+0+0], v[vgprValuA_X4_I0+0+0+0], v[0:3]
 // Cr += Ar*Br
/*  mfmaIndex:65  */
v_mfma_f32_16x16x4_f32 v[16+0:19+0], v[vgprValuB_X4_I0+0+0+0], v[vgprValuA_X4_I0+0+0+0+1], v[16:19]
 // Ci += Ai*Br
/*  mfmaIndex:66  */
v_mfma_f32_16x16x4_f32 v[0+0:3+0], v[vgprValuB_X4_I0+0+0+0+1], v151, v[0:3]
 // Cr += -Ai*Bi
/*  mfmaIndex:67  */
/* sched write - iter 4 writesPerItem=1 */
s_waitcnt vmcnt(0)                                 // lgkmcnt=-1 vmcnt=0wait for global read before writing to local
_ds_store_b64 v[vgprLocalWriteAddrB], v[vgprG2LB+2:vgprG2LB+2+1] offset:2112 // lwoB_0_0_1_0 = (0*LSCB)*(MT1J+PAD) + (1*LSPB) = 2112
v_mfma_f32_16x16x4_f32 v[16+0:19+0], v[vgprValuB_X4_I0+0+0+0+1], v[vgprValuA_X4_I0+0+0+0], v[16:19]
 // Ci += Ar*Bi
/*  mfmaIndex:68  */
_buffer_load_b64 v[vgprG2LB+2:vgprG2LB+2+1], v[vgprGlobalReadOffsetB+0], s[sgprSrdB:sgprSrdB+3], s[sgprScalarGlobalReadOffsetB+0], offen offset:0 // G -> Reg 0_0_1_0
v_mfma_f32_16x16x4_f32 v[4+0:7+0], v[vgprValuB_X4_I0+2+0+0], v[vgprValuA_X4_I0+0+0+0], v[4:7]
 // Cr += Ar*Br
/*  mfmaIndex:69  */
v_mfma_f32_16x16x4_f32 v[20+0:23+0], v[vgprValuB_X4_I0+2+0+0], v[vgprValuA_X4_I0+0+0+0+1], v[20:23]
 // Ci += Ai*Br
/*  mfmaIndex:70  */
v_mfma_f32_16x16x4_f32 v[4+0:7+0], v[vgprValuB_X4_I0+2+0+0+1], v151, v[4:7]
 // Cr += -Ai*Bi
/*  mfmaIndex:71  */
v_mfma_f32_16x16x4_f32 v[20+0:23+0], v[vgprValuB_X4_I0+2+0+0+1], v[vgprValuA_X4_I0+0+0+0], v[20:23]
 // Ci += Ar*Bi
/*  mfmaIndex:72  */
v_mfma_f32_16x16x4_f32 v[8+0:11+0], v[vgprValuB_X4_I0+4+0+0], v[vgprValuA_X4_I0+0+0+0], v[8:11]
 // Cr += Ar*Br
/*  mfmaIndex:73  */
v_mfma_f32_16x16x4_f32 v[24+0:27+0], v[vgprValuB_X4_I0+4+0+0], v[vgprValuA_X4_I0+0+0+0+1], v[24:27]
 // Ci += Ai*Br
/*  mfmaIndex:74  */
v_mfma_f32_16x16x4_f32 v[8+0:11+0], v[vgprValuB_X4_I0+4+0+0+1], v151, v[8:11]
 // Cr += -Ai*Bi
/*  mfmaIndex:75  */
v_mfma_f32_16x16x4_f32 v[24+0:27+0], v[vgprValuB_X4_I0+4+0+0+1], v[vgprValuA_X4_I0+0+0+0], v[24:27]
 // Ci += Ar*Bi
/*  mfmaIndex:76  */
/* sched write - iter 4 writesPerItem=1 */
s_waitcnt vmcnt(0)                                 // lgkmcnt=-1 vmcnt=0wait for global read before writing to local
_ds_store_b64 v[vgprLocalWriteAddrB], v[vgprG2LB+4:vgprG2LB+4+1] offset:4224 // lwoB_0_0_2_0 = (0*LSCB)*(MT1J+PAD) + (2*LSPB) = 4224
v_mfma_f32_16x16x4_f32 v[12+0:15+0], v[vgprValuB_X4_I0+6+0+0], v[vgprValuA_X4_I0+0+0+0], v[12:15]
 // Cr += Ar*Br
/*  mfmaIndex:77  */
_buffer_load_b64 v[vgprG2LB+4:vgprG2LB+4+1], v[vgprGlobalReadOffsetB+0], s[sgprSrdB:sgprSrdB+3], s[sgprScalarGlobalReadOffsetB+1], offen offset:0 // G -> Reg 0_0_2_0
v_mfma_f32_16x16x4_f32 v[28+0:31+0], v[vgprValuB_X4_I0+6+0+0], v[vgprValuA_X4_I0+0+0+0+1], v[28:31]
 // Ci += Ai*Br
/*  mfmaIndex:78  */
v_mfma_f32_16x16x4_f32 v[12+0:15+0], v[vgprValuB_X4_I0+6+0+0+1], v151, v[12:15]
 // Cr += -Ai*Bi
/*  mfmaIndex:79  */
v_mfma_f32_16x16x4_f32 v[28+0:31+0], v[vgprValuB_X4_I0+6+0+0+1], v[vgprValuA_X4_I0+0+0+0], v[28:31]
 // Ci += Ar*Bi


/* iter 5 */

/*  grEndMfmaIndex:4, lwStartMfmaIndex:24, lwEndMfmaIndex:120  */
/*  numMfmaForLR:5, barrierMfmaIndex:122, LocalWritePerMfma:0.115 */
/*  mfmaIndex:80  */
v_add_f32 v151, -v[vgprValuA_X5_I0+0+0+0+1], 0     // Ai=-Ai
v_mfma_f32_16x16x4_f32 v[0+0:3+0], v[vgprValuB_X5_I0+0+0+0], v[vgprValuA_X5_I0+0+0+0], v[0:3]
 // Cr += Ar*Br
/*  mfmaIndex:81  */
v_mfma_f32_16x16x4_f32 v[16+0:19+0], v[vgprValuB_X5_I0+0+0+0], v[vgprValuA_X5_I0+0+0+0+1], v[16:19]
 // Ci += Ai*Br
/*  mfmaIndex:82  */
v_mfma_f32_16x16x4_f32 v[0+0:3+0], v[vgprValuB_X5_I0+0+0+0+1], v151, v[0:3]
 // Cr += -Ai*Bi
/*  mfmaIndex:83  */
v_mfma_f32_16x16x4_f32 v[16+0:19+0], v[vgprValuB_X5_I0+0+0+0+1], v[vgprValuA_X5_I0+0+0+0], v[16:19]
 // Ci += Ar*Bi
/*  mfmaIndex:84  */
/* sched write - iter 5 writesPerItem=1 */
s_waitcnt vmcnt(0)                                 // lgkmcnt=-1 vmcnt=0wait for global read before writing to local
_ds_store_b64 v[vgprLocalWriteAddrB], v[vgprG2LB+6:vgprG2LB+6+1] offset:6336 // lwoB_0_0_3_0 = (0*LSCB)*(MT1J+PAD) + (3*LSPB) = 6336
v_mfma_f32_16x16x4_f32 v[4+0:7+0], v[vgprValuB_X5_I0+2+0+0], v[vgprValuA_X5_I0+0+0+0], v[4:7]
 // Cr += Ar*Br
/*  mfmaIndex:85  */
_buffer_load_b64 v[vgprG2LB+6:vgprG2LB+6+1], v[vgprGlobalReadOffsetB+0], s[sgprSrdB:sgprSrdB+3], s[sgprScalarGlobalReadOffsetB+2], offen offset:0 // G -> Reg 0_0_3_0
v_mfma_f32_16x16x4_f32 v[20+0:23+0], v[vgprValuB_X5_I0+2+0+0], v[vgprValuA_X5_I0+0+0+0+1], v[20:23]
 // Ci += Ai*Br
/*  mfmaIndex:86  */
v_mfma_f32_16x16x4_f32 v[4+0:7+0], v[vgprValuB_X5_I0+2+0+0+1], v151, v[4:7]
 // Cr += -Ai*Bi
/*  mfmaIndex:87  */
v_mfma_f32_16x16x4_f32 v[20+0:23+0], v[vgprValuB_X5_I0+2+0+0+1], v[vgprValuA_X5_I0+0+0+0], v[20:23]
 // Ci += Ar*Bi
/*  mfmaIndex:88  */
v_mfma_f32_16x16x4_f32 v[8+0:11+0], v[vgprValuB_X5_I0+4+0+0], v[vgprValuA_X5_I0+0+0+0], v[8:11]
 // Cr += Ar*Br
/*  mfmaIndex:89  */
v_mfma_f32_16x16x4_f32 v[24+0:27+0], v[vgprValuB_X5_I0+4+0+0], v[vgprValuA_X5_I0+0+0+0+1], v[24:27]
 // Ci += Ai*Br
/*  mfmaIndex:90  */
v_mfma_f32_16x16x4_f32 v[8+0:11+0], v[vgprValuB_X5_I0+4+0+0+1], v151, v[8:11]
 // Cr += -Ai*Bi
/*  mfmaIndex:91  */
v_mfma_f32_16x16x4_f32 v[24+0:27+0], v[vgprValuB_X5_I0+4+0+0+1], v[vgprValuA_X5_I0+0+0+0], v[24:27]
 // Ci += Ar*Bi
/*  mfmaIndex:92  */
v_mfma_f32_16x16x4_f32 v[12+0:15+0], v[vgprValuB_X5_I0+6+0+0], v[vgprValuA_X5_I0+0+0+0], v[12:15]
 // Cr += Ar*Br
/*  mfmaIndex:93  */
/* sched write - iter 5 writesPerItem=1 */
s_waitcnt vmcnt(0)                                 // lgkmcnt=-1 vmcnt=0wait for global read before writing to local
_ds_store_b64 v[vgprLocalWriteAddrB], v[vgprG2LB+8:vgprG2LB+8+1] offset:8448 // lwoB_0_0_4_0 = (0*LSCB)*(MT1J+PAD) + (4*LSPB) = 8448
v_mfma_f32_16x16x4_f32 v[28+0:31+0], v[vgprValuB_X5_I0+6+0+0], v[vgprValuA_X5_I0+0+0+0+1], v[28:31]
 // Ci += Ai*Br
/*  mfmaIndex:94  */
_buffer_load_b64 v[vgprG2LB+8:vgprG2LB+8+1], v[vgprGlobalReadOffsetB+0], s[sgprSrdB:sgprSrdB+3], s[sgprScalarGlobalReadOffsetB+3], offen offset:0 // G -> Reg 0_0_4_0
v_mfma_f32_16x16x4_f32 v[12+0:15+0], v[vgprValuB_X5_I0+6+0+0+1], v151, v[12:15]
 // Cr += -Ai*Bi
/*  mfmaIndex:95  */
v_mfma_f32_16x16x4_f32 v[28+0:31+0], v[vgprValuB_X5_I0+6+0+0+1], v[vgprValuA_X5_I0+0+0+0], v[28:31]
 // Ci += Ar*Bi


/* iter 6 (reset local read pointers iteration)  (swap local read pointers iteration)  */

/*  grEndMfmaIndex:4, lwStartMfmaIndex:24, lwEndMfmaIndex:120  */
/*  numMfmaForLR:5, barrierMfmaIndex:122, LocalWritePerMfma:0.115 */
/*  mfmaIndex:96  */
v_add_f32 v151, -v[vgprValuA_X6_I0+0+0+0+1], 0     // Ai=-Ai
v_mfma_f32_16x16x4_f32 v[0+0:3+0], v[vgprValuB_X6_I0+0+0+0], v[vgprValuA_X6_I0+0+0+0], v[0:3]
 // Cr += Ar*Br
/*  mfmaIndex:97  */
v_mfma_f32_16x16x4_f32 v[16+0:19+0], v[vgprValuB_X6_I0+0+0+0], v[vgprValuA_X6_I0+0+0+0+1], v[16:19]
 // Ci += Ai*Br
/*  mfmaIndex:98  */
v_mfma_f32_16x16x4_f32 v[0+0:3+0], v[vgprValuB_X6_I0+0+0+0+1], v151, v[0:3]
 // Cr += -Ai*Bi
/*  mfmaIndex:99  */
v_mfma_f32_16x16x4_f32 v[16+0:19+0], v[vgprValuB_X6_I0+0+0+0+1], v[vgprValuA_X6_I0+0+0+0], v[16:19]
 // Ci += Ar*Bi
/*  mfmaIndex:100  */
v_mfma_f32_16x16x4_f32 v[4+0:7+0], v[vgprValuB_X6_I0+2+0+0], v[vgprValuA_X6_I0+0+0+0], v[4:7]
 // Cr += Ar*Br
/*  mfmaIndex:101  */
v_mfma_f32_16x16x4_f32 v[20+0:23+0], v[vgprValuB_X6_I0+2+0+0], v[vgprValuA_X6_I0+0+0+0+1], v[20:23]
 // Ci += Ai*Br
/*  mfmaIndex:102  */
/* sched write - iter 6 writesPerItem=1 */
s_waitcnt vmcnt(0)                                 // lgkmcnt=-1 vmcnt=0wait for global read before writing to local
_ds_store_b64 v[vgprLocalWriteAddrB], v[vgprG2LB+10:vgprG2LB+10+1] offset:10560 // lwoB_0_0_5_0 = (0*LSCB)*(MT1J+PAD) + (5*LSPB) = 10560
v_mfma_f32_16x16x4_f32 v[4+0:7+0], v[vgprValuB_X6_I0+2+0+0+1], v151, v[4:7]
 // Cr += -Ai*Bi
/*  mfmaIndex:103  */
_buffer_load_b64 v[vgprG2LB+10:vgprG2LB+10+1], v[vgprGlobalReadOffsetB+0], s[sgprSrdB:sgprSrdB+3], s[sgprScalarGlobalReadOffsetB+4], offen offset:0 // G -> Reg 0_0_5_0
v_mfma_f32_16x16x4_f32 v[20+0:23+0], v[vgprValuB_X6_I0+2+0+0+1], v[vgprValuA_X6_I0+0+0+0], v[20:23]
 // Ci += Ar*Bi
/*  mfmaIndex:104  */
v_mfma_f32_16x16x4_f32 v[8+0:11+0], v[vgprValuB_X6_I0+4+0+0], v[vgprValuA_X6_I0+0+0+0], v[8:11]
 // Cr += Ar*Br
/*  mfmaIndex:105  */
v_mfma_f32_16x16x4_f32 v[24+0:27+0], v[vgprValuB_X6_I0+4+0+0], v[vgprValuA_X6_I0+0+0+0+1], v[24:27]
 // Ci += Ai*Br
/*  mfmaIndex:106  */
v_mfma_f32_16x16x4_f32 v[8+0:11+0], v[vgprValuB_X6_I0+4+0+0+1], v151, v[8:11]
 // Cr += -Ai*Bi
/*  mfmaIndex:107  */
v_mfma_f32_16x16x4_f32 v[24+0:27+0], v[vgprValuB_X6_I0+4+0+0+1], v[vgprValuA_X6_I0+0+0+0], v[24:27]
 // Ci += Ar*Bi
/*  mfmaIndex:108  */
v_mfma_f32_16x16x4_f32 v[12+0:15+0], v[vgprValuB_X6_I0+6+0+0], v[vgprValuA_X6_I0+0+0+0], v[12:15]
 // Cr += Ar*Br
/*  mfmaIndex:109  */
v_mfma_f32_16x16x4_f32 v[28+0:31+0], v[vgprValuB_X6_I0+6+0+0], v[vgprValuA_X6_I0+0+0+0+1], v[28:31]
 // Ci += Ai*Br
/*  mfmaIndex:110  */
/* sched write - iter 6 writesPerItem=1 */
s_waitcnt vmcnt(0)                                 // lgkmcnt=-1 vmcnt=0wait for global read before writing to local
_ds_store_b64 v[vgprLocalWriteAddrB], v[vgprG2LB+12:vgprG2LB+12+1] offset:12672 // lwoB_0_0_6_0 = (0*LSCB)*(MT1J+PAD) + (6*LSPB) = 12672
v_mfma_f32_16x16x4_f32 v[12+0:15+0], v[vgprValuB_X6_I0+6+0+0+1], v151, v[12:15]
 // Cr += -Ai*Bi
/*  mfmaIndex:111  */
_buffer_load_b64 v[vgprG2LB+12:vgprG2LB+12+1], v[vgprGlobalReadOffsetB+0], s[sgprSrdB:sgprSrdB+3], s[sgprScalarGlobalReadOffsetB+5], offen offset:0 // G -> Reg 0_0_6_0

/* local read swap offsets a */

/* local read swap offsets b */

/* local read init pointers a */

/* localReadInitPointers */

/* local read init pointers b */

/* localReadInitPointers */
v_mfma_f32_16x16x4_f32 v[28+0:31+0], v[vgprValuB_X6_I0+6+0+0+1], v[vgprValuA_X6_I0+0+0+0], v[28:31]
 // Ci += Ar*Bi


/* iter 7 (swap and reset local write pointers iteration)  */

/*  grEndMfmaIndex:4, lwStartMfmaIndex:24, lwEndMfmaIndex:120  */
/*  numMfmaForLR:5, barrierMfmaIndex:122, LocalWritePerMfma:0.115 */
/*  mfmaIndex:112  */
v_add_f32 v151, -v[vgprValuA_X7_I0+0+0+0+1], 0     // Ai=-Ai
v_mfma_f32_16x16x4_f32 v[0+0:3+0], v[vgprValuB_X7_I0+0+0+0], v[vgprValuA_X7_I0+0+0+0], v[0:3]
 // Cr += Ar*Br
/*  mfmaIndex:113  */
v_mfma_f32_16x16x4_f32 v[16+0:19+0], v[vgprValuB_X7_I0+0+0+0], v[vgprValuA_X7_I0+0+0+0+1], v[16:19]
 // Ci += Ai*Br
/*  mfmaIndex:114  */
v_mfma_f32_16x16x4_f32 v[0+0:3+0], v[vgprValuB_X7_I0+0+0+0+1], v151, v[0:3]
 // Cr += -Ai*Bi
/*  mfmaIndex:115  */
v_mfma_f32_16x16x4_f32 v[16+0:19+0], v[vgprValuB_X7_I0+0+0+0+1], v[vgprValuA_X7_I0+0+0+0], v[16:19]
 // Ci += Ar*Bi
/*  mfmaIndex:116  */
v_mfma_f32_16x16x4_f32 v[4+0:7+0], v[vgprValuB_X7_I0+2+0+0], v[vgprValuA_X7_I0+0+0+0], v[4:7]
 // Cr += Ar*Br
/*  mfmaIndex:117  */
v_mfma_f32_16x16x4_f32 v[20+0:23+0], v[vgprValuB_X7_I0+2+0+0], v[vgprValuA_X7_I0+0+0+0+1], v[20:23]
 // Ci += Ai*Br
/*  mfmaIndex:118  */
v_mfma_f32_16x16x4_f32 v[4+0:7+0], v[vgprValuB_X7_I0+2+0+0+1], v151, v[4:7]
 // Cr += -Ai*Bi
/*  mfmaIndex:119  */
/* sched write - iter 7 writesPerItem=1 */
s_waitcnt vmcnt(0)                                 // lgkmcnt=-1 vmcnt=0wait for global read before writing to local
_ds_store_b64 v[vgprLocalWriteAddrB], v[vgprG2LB+14:vgprG2LB+14+1] offset:14784 // lwoB_0_0_7_0 = (0*LSCB)*(MT1J+PAD) + (7*LSPB) = 14784
v_mfma_f32_16x16x4_f32 v[20+0:23+0], v[vgprValuB_X7_I0+2+0+0+1], v[vgprValuA_X7_I0+0+0+0], v[20:23]
 // Ci += Ar*Bi
/*  mfmaIndex:120  */
_buffer_load_b64 v[vgprG2LB+14:vgprG2LB+14+1], v[vgprGlobalReadOffsetB+0], s[sgprSrdB:sgprSrdB+3], s[sgprScalarGlobalReadOffsetB+6], offen offset:0 // G -> Reg 0_0_7_0

/* local write swap offsets a */

/* local write swap offsets b */
v_mfma_f32_16x16x4_f32 v[8+0:11+0], v[vgprValuB_X7_I0+4+0+0], v[vgprValuA_X7_I0+0+0+0], v[8:11]
 // Cr += Ar*Br
/*  mfmaIndex:121  */
v_mfma_f32_16x16x4_f32 v[24+0:27+0], v[vgprValuB_X7_I0+4+0+0], v[vgprValuA_X7_I0+0+0+0+1], v[24:27]
 // Ci += Ai*Br
/*  mfmaIndex:122  */
s_waitcnt lgkmcnt(0)                               // lgkmcnt=0 vmcnt=-13wait for local write
// Skip force waitcnt0
s_barrier //
v_mfma_f32_16x16x4_f32 v[8+0:11+0], v[vgprValuB_X7_I0+4+0+0+1], v151, v[8:11]
 // Cr += -Ai*Bi
/*  mfmaIndex:123  */
_ds_load_b64 v[vgprValuA_X0_I0+0:vgprValuA_X0_I0+0+1], v[vgprLocalReadAddrA] offset:0 // L -> Reg lro=0 swapByteOffset=0 ti=64 vIdx=0 rIdx=0 oIdx=0 buffer=0 iui=0
_ds_load_b64 v[vgprValuB_X0_I0+0:vgprValuB_X0_I0+0+1], v[vgprLocalReadAddrB] offset:0 // L -> Reg lro=0 swapByteOffset=0 ti=16 vIdx=0 rIdx=0 oIdx=0 buffer=0 iui=0
v_mfma_f32_16x16x4_f32 v[24+0:27+0], v[vgprValuB_X7_I0+4+0+0+1], v[vgprValuA_X7_I0+0+0+0], v[24:27]
 // Ci += Ar*Bi
/*  mfmaIndex:124  */
_ds_load_b64 v[vgprValuB_X0_I0+2:vgprValuB_X0_I0+2+1], v[vgprLocalReadAddrB] offset:4224 // L -> Reg lro=0 swapByteOffset=0 ti=16 vIdx=1 rIdx=0 oIdx=0 buffer=0 iui=0
_ds_load_b64 v[vgprValuB_X0_I0+4:vgprValuB_X0_I0+4+1], v[vgprLocalReadAddrB] offset:8448 // L -> Reg lro=0 swapByteOffset=0 ti=16 vIdx=2 rIdx=0 oIdx=0 buffer=0 iui=0
v_mfma_f32_16x16x4_f32 v[12+0:15+0], v[vgprValuB_X7_I0+6+0+0], v[vgprValuA_X7_I0+0+0+0], v[12:15]
 // Cr += Ar*Br
/*  mfmaIndex:125  */
_ds_load_b64 v[vgprValuB_X0_I0+6:vgprValuB_X0_I0+6+1], v[vgprLocalReadAddrB] offset:12672 // L -> Reg lro=0 swapByteOffset=0 ti=16 vIdx=3 rIdx=0 oIdx=0 buffer=0 iui=0
v_mfma_f32_16x16x4_f32 v[28+0:31+0], v[vgprValuB_X7_I0+6+0+0], v[vgprValuA_X7_I0+0+0+0+1], v[28:31]
 // Ci += Ai*Br
/*  mfmaIndex:126  */
v_mfma_f32_16x16x4_f32 v[12+0:15+0], v[vgprValuB_X7_I0+6+0+0+1], v151, v[12:15]
 // Cr += -Ai*Bi
/*  mfmaIndex:127  */
v_mfma_f32_16x16x4_f32 v[28+0:31+0], v[vgprValuB_X7_I0+6+0+0+1], v[vgprValuA_X7_I0+0+0+0], v[28:31]
 // Ci += Ar*Bi


/******************************************/
/* Unrolled Loop - End 1/2                */
/******************************************/


/* closeLoop loopL finalLoop=0 tailLoop=0 */
s_sub_u32 s[sgprLoopCounterL], s[sgprLoopCounterL], 1 // dec counterL
s_cmp_eq_i32 s[sgprLoopCounterL], 0x2              // counterL==2
s_cbranch_scc1 LoopEndL_oddexit_3                  // exit LoopL


/******************************************/
/* Unrolled Loop 2/2 - Begin              */
/******************************************/

label_0016: // LoopCopy2 


/* Begin Each Unroll: Check VGPR.checkin for INT8 LW */


	;; [unrolled: 1-line block ×3, first 2 shown]
/* iter 0 */

/*  grEndMfmaIndex:4, lwStartMfmaIndex:24, lwEndMfmaIndex:120  */
/*  numMfmaForLR:5, barrierMfmaIndex:122, LocalWritePerMfma:0.115 */
/*  mfmaIndex:0  */
s_waitcnt lgkmcnt(0)                               // lgkmcnt=0 vmcnt=-1wait for prior local read local write old=0, new=0 newLW=0 newLR=0
v_add_f32 v151, -v[vgprValuA_X0_I0+0+0+0+1], 0     // Ai=-Ai
v_mfma_f32_16x16x4_f32 v[0+0:3+0], v[vgprValuB_X0_I0+0+0+0], v[vgprValuA_X0_I0+0+0+0], v[0:3]
 // Cr += Ar*Br
/*  mfmaIndex:1  */
_ds_load_b64 v[vgprValuA_X1_I0+0:vgprValuA_X1_I0+0+1], v[vgprLocalReadAddrA] offset:2048 // L -> Reg lro=256 swapByteOffset=0 ti=64 vIdx=0 rIdx=0 oIdx=0 buffer=1 iui=0
_ds_load_b64 v[vgprValuB_X1_I0+0:vgprValuB_X1_I0+0+1], v[vgprLocalReadAddrB] offset:32 // L -> Reg lro=4 swapByteOffset=0 ti=16 vIdx=0 rIdx=0 oIdx=0 buffer=1 iui=0

/* global read inc A loopL */
s_add_u32 s[sgprSrdA+0], s[sgprSrdA+0], s[sgprGlobalReadIncsA+0] // gra SRD += inc(lower)
s_addc_u32  s[sgprSrdA+1], s[sgprSrdA+1], 0        // gra SRD += inc(upper)
s_sub_u32 s[sgprShadowLimitA+0], s[sgprShadowLimitA+0], s[sgprGlobalReadIncsA+0] // limit -= inc)
v_mfma_f32_16x16x4_f32 v[16+0:19+0], v[vgprValuB_X0_I0+0+0+0], v[vgprValuA_X0_I0+0+0+0+1], v[16:19]
 // Ci += Ai*Br
/*  mfmaIndex:2  */
_ds_load_b64 v[vgprValuB_X1_I0+2:vgprValuB_X1_I0+2+1], v[vgprLocalReadAddrB] offset:4256 // L -> Reg lro=4 swapByteOffset=0 ti=16 vIdx=1 rIdx=0 oIdx=0 buffer=1 iui=0
_ds_load_b64 v[vgprValuB_X1_I0+4:vgprValuB_X1_I0+4+1], v[vgprLocalReadAddrB] offset:8480 // L -> Reg lro=4 swapByteOffset=0 ti=16 vIdx=2 rIdx=0 oIdx=0 buffer=1 iui=0
s_subb_u32 s[sgprShadowLimitA+1], s[sgprShadowLimitA+1], 0 // limit -= inc)
s_cmp_eq_u32 s[sgprShadowLimitA+1], 0              // are we within 2^32?
s_cmov_b32 s[sgprSrdA+2], s[sgprShadowLimitA+0]    // Move shadow to real if we are within 2^32
v_mfma_f32_16x16x4_f32 v[0+0:3+0], v[vgprValuB_X0_I0+0+0+0+1], v151, v[0:3]
 // Cr += -Ai*Bi
/*  mfmaIndex:3  */
_ds_load_b64 v[vgprValuB_X1_I0+6:vgprValuB_X1_I0+6+1], v[vgprLocalReadAddrB] offset:12704 // L -> Reg lro=4 swapByteOffset=0 ti=16 vIdx=3 rIdx=0 oIdx=0 buffer=1 iui=0
/* localReadsVacancy: latencyLeft 3 */
_ds_load_b64 v[vgprValuA_X2_I0+0:vgprValuA_X2_I0+0+1], v[vgprLocalReadAddrA] offset:4096 // L -> Reg lro=512 swapByteOffset=0 ti=64 vIdx=0 rIdx=0 oIdx=0 buffer=2 iui=0

/* global read inc B loopL */
s_add_u32 s[sgprSrdB+0], s[sgprSrdB+0], s[sgprGlobalReadIncsB+0] // gra SRD += inc(lower)
s_addc_u32  s[sgprSrdB+1], s[sgprSrdB+1], 0        // gra SRD += inc(upper)
s_sub_u32 s[sgprShadowLimitB+0], s[sgprShadowLimitB+0], s[sgprGlobalReadIncsB+0] // limit -= inc)
v_mfma_f32_16x16x4_f32 v[16+0:19+0], v[vgprValuB_X0_I0+0+0+0+1], v[vgprValuA_X0_I0+0+0+0], v[16:19]
 // Ci += Ar*Bi
/*  mfmaIndex:4  */
/* localReadsVacancy: latencyLeft 5 */
_ds_load_b64 v[vgprValuB_X2_I0+0:vgprValuB_X2_I0+0+1], v[vgprLocalReadAddrB] offset:64 // L -> Reg lro=8 swapByteOffset=0 ti=16 vIdx=0 rIdx=0 oIdx=0 buffer=2 iui=0
_ds_load_b64 v[vgprValuB_X2_I0+2:vgprValuB_X2_I0+2+1], v[vgprLocalReadAddrB] offset:4288 // L -> Reg lro=8 swapByteOffset=0 ti=16 vIdx=1 rIdx=0 oIdx=0 buffer=2 iui=0
s_subb_u32 s[sgprShadowLimitB+1], s[sgprShadowLimitB+1], 0 // limit -= inc)
s_cmp_eq_u32 s[sgprShadowLimitB+1], 0              // are we within 2^32?
s_cmov_b32 s[sgprSrdB+2], s[sgprShadowLimitB+0]    // Move shadow to real if we are within 2^32
v_mfma_f32_16x16x4_f32 v[4+0:7+0], v[vgprValuB_X0_I0+2+0+0], v[vgprValuA_X0_I0+0+0+0], v[4:7]
 // Cr += Ar*Br
/*  mfmaIndex:5  */
/* localReadsVacancy: latencyLeft 5 */
_ds_load_b64 v[vgprValuB_X2_I0+4:vgprValuB_X2_I0+4+1], v[vgprLocalReadAddrB] offset:8512 // L -> Reg lro=8 swapByteOffset=0 ti=16 vIdx=2 rIdx=0 oIdx=0 buffer=2 iui=0
_ds_load_b64 v[vgprValuB_X2_I0+6:vgprValuB_X2_I0+6+1], v[vgprLocalReadAddrB] offset:12736 // L -> Reg lro=8 swapByteOffset=0 ti=16 vIdx=3 rIdx=0 oIdx=0 buffer=2 iui=0
v_mfma_f32_16x16x4_f32 v[20+0:23+0], v[vgprValuB_X0_I0+2+0+0], v[vgprValuA_X0_I0+0+0+0+1], v[20:23]
 // Ci += Ai*Br
/*  mfmaIndex:6  */
/* localReadsVacancy: latencyLeft 5 */
_ds_load_b64 v[vgprValuA_X3_I0+0:vgprValuA_X3_I0+0+1], v[vgprLocalReadAddrA] offset:6144 // L -> Reg lro=768 swapByteOffset=0 ti=64 vIdx=0 rIdx=0 oIdx=0 buffer=3 iui=0
_ds_load_b64 v[vgprValuB_X3_I0+0:vgprValuB_X3_I0+0+1], v[vgprLocalReadAddrB] offset:96 // L -> Reg lro=12 swapByteOffset=0 ti=16 vIdx=0 rIdx=0 oIdx=0 buffer=3 iui=0
v_mfma_f32_16x16x4_f32 v[4+0:7+0], v[vgprValuB_X0_I0+2+0+0+1], v151, v[4:7]
 // Cr += -Ai*Bi
/*  mfmaIndex:7  */
/* localReadsVacancy: latencyLeft 5 */
_ds_load_b64 v[vgprValuB_X3_I0+2:vgprValuB_X3_I0+2+1], v[vgprLocalReadAddrB] offset:4320 // L -> Reg lro=12 swapByteOffset=0 ti=16 vIdx=1 rIdx=0 oIdx=0 buffer=3 iui=0
_ds_load_b64 v[vgprValuB_X3_I0+4:vgprValuB_X3_I0+4+1], v[vgprLocalReadAddrB] offset:8544 // L -> Reg lro=12 swapByteOffset=0 ti=16 vIdx=2 rIdx=0 oIdx=0 buffer=3 iui=0
v_mfma_f32_16x16x4_f32 v[20+0:23+0], v[vgprValuB_X0_I0+2+0+0+1], v[vgprValuA_X0_I0+0+0+0], v[20:23]
 // Ci += Ar*Bi
/*  mfmaIndex:8  */
/* localReadsVacancy: latencyLeft 5 */
_ds_load_b64 v[vgprValuB_X3_I0+6:vgprValuB_X3_I0+6+1], v[vgprLocalReadAddrB] offset:12768 // L -> Reg lro=12 swapByteOffset=0 ti=16 vIdx=3 rIdx=0 oIdx=0 buffer=3 iui=0
_ds_load_b64 v[vgprValuA_X4_I0+0:vgprValuA_X4_I0+0+1], v[vgprLocalReadAddrA] offset:8192 // L -> Reg lro=1024 swapByteOffset=0 ti=64 vIdx=0 rIdx=0 oIdx=0 buffer=4 iui=0
v_mfma_f32_16x16x4_f32 v[8+0:11+0], v[vgprValuB_X0_I0+4+0+0], v[vgprValuA_X0_I0+0+0+0], v[8:11]
 // Cr += Ar*Br
/*  mfmaIndex:9  */
/* localReadsVacancy: latencyLeft 5 */
_ds_load_b64 v[vgprValuB_X4_I0+0:vgprValuB_X4_I0+0+1], v[vgprLocalReadAddrB] offset:128 // L -> Reg lro=16 swapByteOffset=0 ti=16 vIdx=0 rIdx=0 oIdx=0 buffer=4 iui=0
_ds_load_b64 v[vgprValuB_X4_I0+2:vgprValuB_X4_I0+2+1], v[vgprLocalReadAddrB] offset:4352 // L -> Reg lro=16 swapByteOffset=0 ti=16 vIdx=1 rIdx=0 oIdx=0 buffer=4 iui=0
v_mfma_f32_16x16x4_f32 v[24+0:27+0], v[vgprValuB_X0_I0+4+0+0], v[vgprValuA_X0_I0+0+0+0+1], v[24:27]
 // Ci += Ai*Br
/*  mfmaIndex:10  */
/* localReadsVacancy: latencyLeft 5 */
_ds_load_b64 v[vgprValuB_X4_I0+4:vgprValuB_X4_I0+4+1], v[vgprLocalReadAddrB] offset:8576 // L -> Reg lro=16 swapByteOffset=0 ti=16 vIdx=2 rIdx=0 oIdx=0 buffer=4 iui=0
_ds_load_b64 v[vgprValuB_X4_I0+6:vgprValuB_X4_I0+6+1], v[vgprLocalReadAddrB] offset:12800 // L -> Reg lro=16 swapByteOffset=0 ti=16 vIdx=3 rIdx=0 oIdx=0 buffer=4 iui=0
v_mfma_f32_16x16x4_f32 v[8+0:11+0], v[vgprValuB_X0_I0+4+0+0+1], v151, v[8:11]
 // Cr += -Ai*Bi
/*  mfmaIndex:11  */
/* localReadsVacancy: latencyLeft 5 */
_ds_load_b64 v[vgprValuA_X5_I0+0:vgprValuA_X5_I0+0+1], v[vgprLocalReadAddrA] offset:10240 // L -> Reg lro=1280 swapByteOffset=0 ti=64 vIdx=0 rIdx=0 oIdx=0 buffer=5 iui=0
_ds_load_b64 v[vgprValuB_X5_I0+0:vgprValuB_X5_I0+0+1], v[vgprLocalReadAddrB] offset:160 // L -> Reg lro=20 swapByteOffset=0 ti=16 vIdx=0 rIdx=0 oIdx=0 buffer=5 iui=0
v_mfma_f32_16x16x4_f32 v[24+0:27+0], v[vgprValuB_X0_I0+4+0+0+1], v[vgprValuA_X0_I0+0+0+0], v[24:27]
 // Ci += Ar*Bi
/*  mfmaIndex:12  */
/* localReadsVacancy: latencyLeft 5 */
_ds_load_b64 v[vgprValuB_X5_I0+2:vgprValuB_X5_I0+2+1], v[vgprLocalReadAddrB] offset:4384 // L -> Reg lro=20 swapByteOffset=0 ti=16 vIdx=1 rIdx=0 oIdx=0 buffer=5 iui=0
_ds_load_b64 v[vgprValuB_X5_I0+4:vgprValuB_X5_I0+4+1], v[vgprLocalReadAddrB] offset:8608 // L -> Reg lro=20 swapByteOffset=0 ti=16 vIdx=2 rIdx=0 oIdx=0 buffer=5 iui=0
v_mfma_f32_16x16x4_f32 v[12+0:15+0], v[vgprValuB_X0_I0+6+0+0], v[vgprValuA_X0_I0+0+0+0], v[12:15]
 // Cr += Ar*Br
/*  mfmaIndex:13  */
/* localReadsVacancy: latencyLeft 5 */
_ds_load_b64 v[vgprValuB_X5_I0+6:vgprValuB_X5_I0+6+1], v[vgprLocalReadAddrB] offset:12832 // L -> Reg lro=20 swapByteOffset=0 ti=16 vIdx=3 rIdx=0 oIdx=0 buffer=5 iui=0
_ds_load_b64 v[vgprValuA_X6_I0+0:vgprValuA_X6_I0+0+1], v[vgprLocalReadAddrA] offset:12288 // L -> Reg lro=1536 swapByteOffset=0 ti=64 vIdx=0 rIdx=0 oIdx=0 buffer=6 iui=0
v_mfma_f32_16x16x4_f32 v[28+0:31+0], v[vgprValuB_X0_I0+6+0+0], v[vgprValuA_X0_I0+0+0+0+1], v[28:31]
 // Ci += Ai*Br
/*  mfmaIndex:14  */
/* localReadsVacancy: latencyLeft 5 */
_ds_load_b64 v[vgprValuB_X6_I0+0:vgprValuB_X6_I0+0+1], v[vgprLocalReadAddrB] offset:192 // L -> Reg lro=24 swapByteOffset=0 ti=16 vIdx=0 rIdx=0 oIdx=0 buffer=6 iui=0
_ds_load_b64 v[vgprValuB_X6_I0+2:vgprValuB_X6_I0+2+1], v[vgprLocalReadAddrB] offset:4416 // L -> Reg lro=24 swapByteOffset=0 ti=16 vIdx=1 rIdx=0 oIdx=0 buffer=6 iui=0
v_mfma_f32_16x16x4_f32 v[12+0:15+0], v[vgprValuB_X0_I0+6+0+0+1], v151, v[12:15]
 // Cr += -Ai*Bi
/*  mfmaIndex:15  */
/* localReadsVacancy: latencyLeft 5 */
_ds_load_b64 v[vgprValuB_X6_I0+4:vgprValuB_X6_I0+4+1], v[vgprLocalReadAddrB] offset:8640 // L -> Reg lro=24 swapByteOffset=0 ti=16 vIdx=2 rIdx=0 oIdx=0 buffer=6 iui=0
_ds_load_b64 v[vgprValuB_X6_I0+6:vgprValuB_X6_I0+6+1], v[vgprLocalReadAddrB] offset:12864 // L -> Reg lro=24 swapByteOffset=0 ti=16 vIdx=3 rIdx=0 oIdx=0 buffer=6 iui=0
v_mfma_f32_16x16x4_f32 v[28+0:31+0], v[vgprValuB_X0_I0+6+0+0+1], v[vgprValuA_X0_I0+0+0+0], v[28:31]
 // Ci += Ar*Bi
/* numPrefetchIter=0 */
/* dataAtIterA=-1 numReadsIterA=1 skipReadsIterA=1 readsPerIterA=1 */
/* dataAtIterB=-1 numReadsIterB=1 skipReadsIterB=1 readsPerIterB=4 */


/* iter 1 */

/*  grEndMfmaIndex:4, lwStartMfmaIndex:24, lwEndMfmaIndex:120  */
/*  numMfmaForLR:5, barrierMfmaIndex:122, LocalWritePerMfma:0.115 */
/*  mfmaIndex:16  */
/* localReadsVacancy: latencyLeft 5 */
_ds_load_b64 v[vgprValuA_X7_I0+0:vgprValuA_X7_I0+0+1], v[vgprLocalReadAddrA] offset:14336 // L -> Reg lro=1792 swapByteOffset=0 ti=64 vIdx=0 rIdx=0 oIdx=0 buffer=7 iui=0
_ds_load_b64 v[vgprValuB_X7_I0+0:vgprValuB_X7_I0+0+1], v[vgprLocalReadAddrB] offset:224 // L -> Reg lro=28 swapByteOffset=0 ti=16 vIdx=0 rIdx=0 oIdx=0 buffer=7 iui=0
s_waitcnt lgkmcnt(15)                              // lgkmcnt=0 vmcnt=-1wait for prior local read local write old=5, new=5 newLW=0 newLR=0
v_add_f32 v151, -v[vgprValuA_X1_I0+0+0+0+1], 0     // Ai=-Ai
v_mfma_f32_16x16x4_f32 v[0+0:3+0], v[vgprValuB_X1_I0+0+0+0], v[vgprValuA_X1_I0+0+0+0], v[0:3]
 // Cr += Ar*Br
/*  mfmaIndex:17  */
/* localReadsVacancy: latencyLeft 5 */
_ds_load_b64 v[vgprValuB_X7_I0+2:vgprValuB_X7_I0+2+1], v[vgprLocalReadAddrB] offset:4448 // L -> Reg lro=28 swapByteOffset=0 ti=16 vIdx=1 rIdx=0 oIdx=0 buffer=7 iui=0
_ds_load_b64 v[vgprValuB_X7_I0+4:vgprValuB_X7_I0+4+1], v[vgprLocalReadAddrB] offset:8672 // L -> Reg lro=28 swapByteOffset=0 ti=16 vIdx=2 rIdx=0 oIdx=0 buffer=7 iui=0
v_mfma_f32_16x16x4_f32 v[16+0:19+0], v[vgprValuB_X1_I0+0+0+0], v[vgprValuA_X1_I0+0+0+0+1], v[16:19]
 // Ci += Ai*Br
/*  mfmaIndex:18  */
/* localReadsVacancy: latencyLeft 5 */
_ds_load_b64 v[vgprValuB_X7_I0+6:vgprValuB_X7_I0+6+1], v[vgprLocalReadAddrB] offset:12896 // L -> Reg lro=28 swapByteOffset=0 ti=16 vIdx=3 rIdx=0 oIdx=0 buffer=7 iui=0
v_mfma_f32_16x16x4_f32 v[0+0:3+0], v[vgprValuB_X1_I0+0+0+0+1], v151, v[0:3]
 // Cr += -Ai*Bi
/*  mfmaIndex:19  */
/* localReadsVacancy: latencyLeft 5 */
v_mfma_f32_16x16x4_f32 v[16+0:19+0], v[vgprValuB_X1_I0+0+0+0+1], v[vgprValuA_X1_I0+0+0+0], v[16:19]
 // Ci += Ar*Bi
/*  mfmaIndex:20  */
/* localReadsVacancy: latencyLeft 5 */
v_mfma_f32_16x16x4_f32 v[4+0:7+0], v[vgprValuB_X1_I0+2+0+0], v[vgprValuA_X1_I0+0+0+0], v[4:7]
 // Cr += Ar*Br
/*  mfmaIndex:21  */
/* localReadsVacancy: latencyLeft 5 */
v_mfma_f32_16x16x4_f32 v[20+0:23+0], v[vgprValuB_X1_I0+2+0+0], v[vgprValuA_X1_I0+0+0+0+1], v[20:23]
 // Ci += Ai*Br
/*  mfmaIndex:22  */
/* localReadsVacancy: latencyLeft 5 */
v_mfma_f32_16x16x4_f32 v[4+0:7+0], v[vgprValuB_X1_I0+2+0+0+1], v151, v[4:7]
 // Cr += -Ai*Bi
/*  mfmaIndex:23  */
/* localReadsVacancy: latencyLeft 5 */
/* 1 LDS buffer: read-sync-write */
s_waitcnt lgkmcnt(0)                               // 
s_barrier                                          // 
v_mfma_f32_16x16x4_f32 v[20+0:23+0], v[vgprValuB_X1_I0+2+0+0+1], v[vgprValuA_X1_I0+0+0+0], v[20:23]
 // Ci += Ar*Bi
/*  mfmaIndex:24  */
/* sched write - iter 1 writesPerItem=1 */
s_waitcnt vmcnt(0)                                 // lgkmcnt=-1 vmcnt=0wait for global read before writing to local
_ds_store_b128 v[vgprLocalWriteAddrA], v[vgprG2LA+0:vgprG2LA+0+3] offset:0 // lwoA_0_0_0_0 = (0*LSCA) + (0*LSPA)(*MT0I+PAD) = 0
v_mfma_f32_16x16x4_f32 v[8+0:11+0], v[vgprValuB_X1_I0+4+0+0], v[vgprValuA_X1_I0+0+0+0], v[8:11]
 // Cr += Ar*Br
/*  mfmaIndex:25  */
_buffer_load_b128 v[vgprG2LA+0:vgprG2LA+0+3], v[vgprGlobalReadOffsetA+0], s[sgprSrdA:sgprSrdA+3], 0, offen offset:0 // G -> Reg 0_0_0_0
v_mfma_f32_16x16x4_f32 v[24+0:27+0], v[vgprValuB_X1_I0+4+0+0], v[vgprValuA_X1_I0+0+0+0+1], v[24:27]
 // Ci += Ai*Br
/*  mfmaIndex:26  */
v_mfma_f32_16x16x4_f32 v[8+0:11+0], v[vgprValuB_X1_I0+4+0+0+1], v151, v[8:11]
 // Cr += -Ai*Bi
/*  mfmaIndex:27  */
v_mfma_f32_16x16x4_f32 v[24+0:27+0], v[vgprValuB_X1_I0+4+0+0+1], v[vgprValuA_X1_I0+0+0+0], v[24:27]
 // Ci += Ar*Bi
/*  mfmaIndex:28  */
v_mfma_f32_16x16x4_f32 v[12+0:15+0], v[vgprValuB_X1_I0+6+0+0], v[vgprValuA_X1_I0+0+0+0], v[12:15]
 // Cr += Ar*Br
/*  mfmaIndex:29  */
v_mfma_f32_16x16x4_f32 v[28+0:31+0], v[vgprValuB_X1_I0+6+0+0], v[vgprValuA_X1_I0+0+0+0+1], v[28:31]
 // Ci += Ai*Br
/*  mfmaIndex:30  */
v_mfma_f32_16x16x4_f32 v[12+0:15+0], v[vgprValuB_X1_I0+6+0+0+1], v151, v[12:15]
 // Cr += -Ai*Bi
/*  mfmaIndex:31  */
v_mfma_f32_16x16x4_f32 v[28+0:31+0], v[vgprValuB_X1_I0+6+0+0+1], v[vgprValuA_X1_I0+0+0+0], v[28:31]
 // Ci += Ar*Bi
/* numPrefetchIter=0 */
/* dataAtIterA=0 numReadsIterA=2 skipReadsIterA=1 readsPerIterA=1 */
/* dataAtIterB=0 numReadsIterB=2 skipReadsIterB=1 readsPerIterB=4 */


/* iter 2 */

/*  grEndMfmaIndex:4, lwStartMfmaIndex:24, lwEndMfmaIndex:120  */
/*  numMfmaForLR:5, barrierMfmaIndex:122, LocalWritePerMfma:0.115 */
/*  mfmaIndex:32  */
/* sched write - iter 2 writesPerItem=1 */
s_waitcnt vmcnt(0)                                 // lgkmcnt=-1 vmcnt=0wait for global read before writing to local
_ds_store_b128 v[vgprLocalWriteAddrA], v[vgprG2LA+4:vgprG2LA+4+3] offset:4096 // lwoA_0_0_1_0 = (0*LSCA) + (1*LSPA)(*MT0I+PAD) = 4096
v_add_f32 v151, -v[vgprValuA_X2_I0+0+0+0+1], 0     // Ai=-Ai
v_mfma_f32_16x16x4_f32 v[0+0:3+0], v[vgprValuB_X2_I0+0+0+0], v[vgprValuA_X2_I0+0+0+0], v[0:3]
 // Cr += Ar*Br
/*  mfmaIndex:33  */
_buffer_load_b128 v[vgprG2LA+4:vgprG2LA+4+3], v[vgprGlobalReadOffsetA+0], s[sgprSrdA:sgprSrdA+3], s[sgprScalarGlobalReadOffsetA+0], offen offset:0 // G -> Reg 0_0_1_0
v_mfma_f32_16x16x4_f32 v[16+0:19+0], v[vgprValuB_X2_I0+0+0+0], v[vgprValuA_X2_I0+0+0+0+1], v[16:19]
 // Ci += Ai*Br
/*  mfmaIndex:34  */
v_mfma_f32_16x16x4_f32 v[0+0:3+0], v[vgprValuB_X2_I0+0+0+0+1], v151, v[0:3]
 // Cr += -Ai*Bi
/*  mfmaIndex:35  */
v_mfma_f32_16x16x4_f32 v[16+0:19+0], v[vgprValuB_X2_I0+0+0+0+1], v[vgprValuA_X2_I0+0+0+0], v[16:19]
 // Ci += Ar*Bi
/*  mfmaIndex:36  */
v_mfma_f32_16x16x4_f32 v[4+0:7+0], v[vgprValuB_X2_I0+2+0+0], v[vgprValuA_X2_I0+0+0+0], v[4:7]
 // Cr += Ar*Br
/*  mfmaIndex:37  */
v_mfma_f32_16x16x4_f32 v[20+0:23+0], v[vgprValuB_X2_I0+2+0+0], v[vgprValuA_X2_I0+0+0+0+1], v[20:23]
 // Ci += Ai*Br
/*  mfmaIndex:38  */
v_mfma_f32_16x16x4_f32 v[4+0:7+0], v[vgprValuB_X2_I0+2+0+0+1], v151, v[4:7]
 // Cr += -Ai*Bi
/*  mfmaIndex:39  */
v_mfma_f32_16x16x4_f32 v[20+0:23+0], v[vgprValuB_X2_I0+2+0+0+1], v[vgprValuA_X2_I0+0+0+0], v[20:23]
 // Ci += Ar*Bi
/*  mfmaIndex:40  */
v_mfma_f32_16x16x4_f32 v[8+0:11+0], v[vgprValuB_X2_I0+4+0+0], v[vgprValuA_X2_I0+0+0+0], v[8:11]
 // Cr += Ar*Br
/*  mfmaIndex:41  */
/* sched write - iter 2 writesPerItem=1 */
s_waitcnt vmcnt(0)                                 // lgkmcnt=-1 vmcnt=0wait for global read before writing to local
_ds_store_b128 v[vgprLocalWriteAddrA], v[vgprG2LA+8:vgprG2LA+8+3] offset:8192 // lwoA_0_0_2_0 = (0*LSCA) + (2*LSPA)(*MT0I+PAD) = 8192
v_mfma_f32_16x16x4_f32 v[24+0:27+0], v[vgprValuB_X2_I0+4+0+0], v[vgprValuA_X2_I0+0+0+0+1], v[24:27]
 // Ci += Ai*Br
/*  mfmaIndex:42  */
_buffer_load_b128 v[vgprG2LA+8:vgprG2LA+8+3], v[vgprGlobalReadOffsetA+0], s[sgprSrdA:sgprSrdA+3], s[sgprScalarGlobalReadOffsetA+1], offen offset:0 // G -> Reg 0_0_2_0
v_mfma_f32_16x16x4_f32 v[8+0:11+0], v[vgprValuB_X2_I0+4+0+0+1], v151, v[8:11]
 // Cr += -Ai*Bi
/*  mfmaIndex:43  */
v_mfma_f32_16x16x4_f32 v[24+0:27+0], v[vgprValuB_X2_I0+4+0+0+1], v[vgprValuA_X2_I0+0+0+0], v[24:27]
 // Ci += Ar*Bi
/*  mfmaIndex:44  */
v_mfma_f32_16x16x4_f32 v[12+0:15+0], v[vgprValuB_X2_I0+6+0+0], v[vgprValuA_X2_I0+0+0+0], v[12:15]
 // Cr += Ar*Br
/*  mfmaIndex:45  */
v_mfma_f32_16x16x4_f32 v[28+0:31+0], v[vgprValuB_X2_I0+6+0+0], v[vgprValuA_X2_I0+0+0+0+1], v[28:31]
 // Ci += Ai*Br
/*  mfmaIndex:46  */
v_mfma_f32_16x16x4_f32 v[12+0:15+0], v[vgprValuB_X2_I0+6+0+0+1], v151, v[12:15]
 // Cr += -Ai*Bi
/*  mfmaIndex:47  */
v_mfma_f32_16x16x4_f32 v[28+0:31+0], v[vgprValuB_X2_I0+6+0+0+1], v[vgprValuA_X2_I0+0+0+0], v[28:31]
 // Ci += Ar*Bi


/* iter 3 */

/*  grEndMfmaIndex:4, lwStartMfmaIndex:24, lwEndMfmaIndex:120  */
/*  numMfmaForLR:5, barrierMfmaIndex:122, LocalWritePerMfma:0.115 */
/*  mfmaIndex:48  */
v_add_f32 v151, -v[vgprValuA_X3_I0+0+0+0+1], 0     // Ai=-Ai
v_mfma_f32_16x16x4_f32 v[0+0:3+0], v[vgprValuB_X3_I0+0+0+0], v[vgprValuA_X3_I0+0+0+0], v[0:3]
 // Cr += Ar*Br
/*  mfmaIndex:49  */
v_mfma_f32_16x16x4_f32 v[16+0:19+0], v[vgprValuB_X3_I0+0+0+0], v[vgprValuA_X3_I0+0+0+0+1], v[16:19]
 // Ci += Ai*Br
/*  mfmaIndex:50  */
/* sched write - iter 3 writesPerItem=1 */
s_waitcnt vmcnt(0)                                 // lgkmcnt=-1 vmcnt=0wait for global read before writing to local
_ds_store_b128 v[vgprLocalWriteAddrA], v[vgprG2LA+12:vgprG2LA+12+3] offset:12288 // lwoA_0_0_3_0 = (0*LSCA) + (3*LSPA)(*MT0I+PAD) = 12288
v_mfma_f32_16x16x4_f32 v[0+0:3+0], v[vgprValuB_X3_I0+0+0+0+1], v151, v[0:3]
 // Cr += -Ai*Bi
/*  mfmaIndex:51  */
_buffer_load_b128 v[vgprG2LA+12:vgprG2LA+12+3], v[vgprGlobalReadOffsetA+0], s[sgprSrdA:sgprSrdA+3], s[sgprScalarGlobalReadOffsetA+2], offen offset:0 // G -> Reg 0_0_3_0
v_mfma_f32_16x16x4_f32 v[16+0:19+0], v[vgprValuB_X3_I0+0+0+0+1], v[vgprValuA_X3_I0+0+0+0], v[16:19]
 // Ci += Ar*Bi
/*  mfmaIndex:52  */
v_mfma_f32_16x16x4_f32 v[4+0:7+0], v[vgprValuB_X3_I0+2+0+0], v[vgprValuA_X3_I0+0+0+0], v[4:7]
 // Cr += Ar*Br
/*  mfmaIndex:53  */
v_mfma_f32_16x16x4_f32 v[20+0:23+0], v[vgprValuB_X3_I0+2+0+0], v[vgprValuA_X3_I0+0+0+0+1], v[20:23]
 // Ci += Ai*Br
/*  mfmaIndex:54  */
v_mfma_f32_16x16x4_f32 v[4+0:7+0], v[vgprValuB_X3_I0+2+0+0+1], v151, v[4:7]
 // Cr += -Ai*Bi
/*  mfmaIndex:55  */
v_mfma_f32_16x16x4_f32 v[20+0:23+0], v[vgprValuB_X3_I0+2+0+0+1], v[vgprValuA_X3_I0+0+0+0], v[20:23]
 // Ci += Ar*Bi
/*  mfmaIndex:56  */
v_mfma_f32_16x16x4_f32 v[8+0:11+0], v[vgprValuB_X3_I0+4+0+0], v[vgprValuA_X3_I0+0+0+0], v[8:11]
 // Cr += Ar*Br
/*  mfmaIndex:57  */
v_mfma_f32_16x16x4_f32 v[24+0:27+0], v[vgprValuB_X3_I0+4+0+0], v[vgprValuA_X3_I0+0+0+0+1], v[24:27]
 // Ci += Ai*Br
/*  mfmaIndex:58  */
/* sched write - iter 3 writesPerItem=1 */
s_waitcnt vmcnt(0)                                 // lgkmcnt=-1 vmcnt=0wait for global read before writing to local
_ds_store_b64 v[vgprLocalWriteAddrB], v[vgprG2LB+0:vgprG2LB+0+1] offset:0 // lwoB_0_0_0_0 = (0*LSCB)*(MT1J+PAD) + (0*LSPB) = 0
v_mfma_f32_16x16x4_f32 v[8+0:11+0], v[vgprValuB_X3_I0+4+0+0+1], v151, v[8:11]
 // Cr += -Ai*Bi
/*  mfmaIndex:59  */
_buffer_load_b64 v[vgprG2LB+0:vgprG2LB+0+1], v[vgprGlobalReadOffsetB+0], s[sgprSrdB:sgprSrdB+3], 0, offen offset:0 // G -> Reg 0_0_0_0
v_mfma_f32_16x16x4_f32 v[24+0:27+0], v[vgprValuB_X3_I0+4+0+0+1], v[vgprValuA_X3_I0+0+0+0], v[24:27]
 // Ci += Ar*Bi
/*  mfmaIndex:60  */
v_mfma_f32_16x16x4_f32 v[12+0:15+0], v[vgprValuB_X3_I0+6+0+0], v[vgprValuA_X3_I0+0+0+0], v[12:15]
 // Cr += Ar*Br
/*  mfmaIndex:61  */
v_mfma_f32_16x16x4_f32 v[28+0:31+0], v[vgprValuB_X3_I0+6+0+0], v[vgprValuA_X3_I0+0+0+0+1], v[28:31]
 // Ci += Ai*Br
/*  mfmaIndex:62  */
v_mfma_f32_16x16x4_f32 v[12+0:15+0], v[vgprValuB_X3_I0+6+0+0+1], v151, v[12:15]
 // Cr += -Ai*Bi
/*  mfmaIndex:63  */
v_mfma_f32_16x16x4_f32 v[28+0:31+0], v[vgprValuB_X3_I0+6+0+0+1], v[vgprValuA_X3_I0+0+0+0], v[28:31]
 // Ci += Ar*Bi


/* iter 4 */

/*  grEndMfmaIndex:4, lwStartMfmaIndex:24, lwEndMfmaIndex:120  */
/*  numMfmaForLR:5, barrierMfmaIndex:122, LocalWritePerMfma:0.115 */
/*  mfmaIndex:64  */
v_add_f32 v151, -v[vgprValuA_X4_I0+0+0+0+1], 0     // Ai=-Ai
v_mfma_f32_16x16x4_f32 v[0+0:3+0], v[vgprValuB_X4_I0+0+0+0], v[vgprValuA_X4_I0+0+0+0], v[0:3]
 // Cr += Ar*Br
/*  mfmaIndex:65  */
v_mfma_f32_16x16x4_f32 v[16+0:19+0], v[vgprValuB_X4_I0+0+0+0], v[vgprValuA_X4_I0+0+0+0+1], v[16:19]
 // Ci += Ai*Br
/*  mfmaIndex:66  */
v_mfma_f32_16x16x4_f32 v[0+0:3+0], v[vgprValuB_X4_I0+0+0+0+1], v151, v[0:3]
 // Cr += -Ai*Bi
/*  mfmaIndex:67  */
/* sched write - iter 4 writesPerItem=1 */
s_waitcnt vmcnt(0)                                 // lgkmcnt=-1 vmcnt=0wait for global read before writing to local
_ds_store_b64 v[vgprLocalWriteAddrB], v[vgprG2LB+2:vgprG2LB+2+1] offset:2112 // lwoB_0_0_1_0 = (0*LSCB)*(MT1J+PAD) + (1*LSPB) = 2112
v_mfma_f32_16x16x4_f32 v[16+0:19+0], v[vgprValuB_X4_I0+0+0+0+1], v[vgprValuA_X4_I0+0+0+0], v[16:19]
 // Ci += Ar*Bi
/*  mfmaIndex:68  */
_buffer_load_b64 v[vgprG2LB+2:vgprG2LB+2+1], v[vgprGlobalReadOffsetB+0], s[sgprSrdB:sgprSrdB+3], s[sgprScalarGlobalReadOffsetB+0], offen offset:0 // G -> Reg 0_0_1_0
v_mfma_f32_16x16x4_f32 v[4+0:7+0], v[vgprValuB_X4_I0+2+0+0], v[vgprValuA_X4_I0+0+0+0], v[4:7]
 // Cr += Ar*Br
/*  mfmaIndex:69  */
v_mfma_f32_16x16x4_f32 v[20+0:23+0], v[vgprValuB_X4_I0+2+0+0], v[vgprValuA_X4_I0+0+0+0+1], v[20:23]
 // Ci += Ai*Br
/*  mfmaIndex:70  */
v_mfma_f32_16x16x4_f32 v[4+0:7+0], v[vgprValuB_X4_I0+2+0+0+1], v151, v[4:7]
 // Cr += -Ai*Bi
/*  mfmaIndex:71  */
v_mfma_f32_16x16x4_f32 v[20+0:23+0], v[vgprValuB_X4_I0+2+0+0+1], v[vgprValuA_X4_I0+0+0+0], v[20:23]
 // Ci += Ar*Bi
/*  mfmaIndex:72  */
v_mfma_f32_16x16x4_f32 v[8+0:11+0], v[vgprValuB_X4_I0+4+0+0], v[vgprValuA_X4_I0+0+0+0], v[8:11]
 // Cr += Ar*Br
/*  mfmaIndex:73  */
v_mfma_f32_16x16x4_f32 v[24+0:27+0], v[vgprValuB_X4_I0+4+0+0], v[vgprValuA_X4_I0+0+0+0+1], v[24:27]
 // Ci += Ai*Br
/*  mfmaIndex:74  */
v_mfma_f32_16x16x4_f32 v[8+0:11+0], v[vgprValuB_X4_I0+4+0+0+1], v151, v[8:11]
 // Cr += -Ai*Bi
/*  mfmaIndex:75  */
v_mfma_f32_16x16x4_f32 v[24+0:27+0], v[vgprValuB_X4_I0+4+0+0+1], v[vgprValuA_X4_I0+0+0+0], v[24:27]
 // Ci += Ar*Bi
/*  mfmaIndex:76  */
/* sched write - iter 4 writesPerItem=1 */
s_waitcnt vmcnt(0)                                 // lgkmcnt=-1 vmcnt=0wait for global read before writing to local
_ds_store_b64 v[vgprLocalWriteAddrB], v[vgprG2LB+4:vgprG2LB+4+1] offset:4224 // lwoB_0_0_2_0 = (0*LSCB)*(MT1J+PAD) + (2*LSPB) = 4224
v_mfma_f32_16x16x4_f32 v[12+0:15+0], v[vgprValuB_X4_I0+6+0+0], v[vgprValuA_X4_I0+0+0+0], v[12:15]
 // Cr += Ar*Br
/*  mfmaIndex:77  */
_buffer_load_b64 v[vgprG2LB+4:vgprG2LB+4+1], v[vgprGlobalReadOffsetB+0], s[sgprSrdB:sgprSrdB+3], s[sgprScalarGlobalReadOffsetB+1], offen offset:0 // G -> Reg 0_0_2_0
v_mfma_f32_16x16x4_f32 v[28+0:31+0], v[vgprValuB_X4_I0+6+0+0], v[vgprValuA_X4_I0+0+0+0+1], v[28:31]
 // Ci += Ai*Br
/*  mfmaIndex:78  */
v_mfma_f32_16x16x4_f32 v[12+0:15+0], v[vgprValuB_X4_I0+6+0+0+1], v151, v[12:15]
 // Cr += -Ai*Bi
/*  mfmaIndex:79  */
v_mfma_f32_16x16x4_f32 v[28+0:31+0], v[vgprValuB_X4_I0+6+0+0+1], v[vgprValuA_X4_I0+0+0+0], v[28:31]
 // Ci += Ar*Bi


/* iter 5 */

/*  grEndMfmaIndex:4, lwStartMfmaIndex:24, lwEndMfmaIndex:120  */
/*  numMfmaForLR:5, barrierMfmaIndex:122, LocalWritePerMfma:0.115 */
/*  mfmaIndex:80  */
v_add_f32 v151, -v[vgprValuA_X5_I0+0+0+0+1], 0     // Ai=-Ai
v_mfma_f32_16x16x4_f32 v[0+0:3+0], v[vgprValuB_X5_I0+0+0+0], v[vgprValuA_X5_I0+0+0+0], v[0:3]
 // Cr += Ar*Br
/*  mfmaIndex:81  */
v_mfma_f32_16x16x4_f32 v[16+0:19+0], v[vgprValuB_X5_I0+0+0+0], v[vgprValuA_X5_I0+0+0+0+1], v[16:19]
 // Ci += Ai*Br
/*  mfmaIndex:82  */
v_mfma_f32_16x16x4_f32 v[0+0:3+0], v[vgprValuB_X5_I0+0+0+0+1], v151, v[0:3]
 // Cr += -Ai*Bi
/*  mfmaIndex:83  */
v_mfma_f32_16x16x4_f32 v[16+0:19+0], v[vgprValuB_X5_I0+0+0+0+1], v[vgprValuA_X5_I0+0+0+0], v[16:19]
 // Ci += Ar*Bi
/*  mfmaIndex:84  */
/* sched write - iter 5 writesPerItem=1 */
s_waitcnt vmcnt(0)                                 // lgkmcnt=-1 vmcnt=0wait for global read before writing to local
_ds_store_b64 v[vgprLocalWriteAddrB], v[vgprG2LB+6:vgprG2LB+6+1] offset:6336 // lwoB_0_0_3_0 = (0*LSCB)*(MT1J+PAD) + (3*LSPB) = 6336
v_mfma_f32_16x16x4_f32 v[4+0:7+0], v[vgprValuB_X5_I0+2+0+0], v[vgprValuA_X5_I0+0+0+0], v[4:7]
 // Cr += Ar*Br
/*  mfmaIndex:85  */
_buffer_load_b64 v[vgprG2LB+6:vgprG2LB+6+1], v[vgprGlobalReadOffsetB+0], s[sgprSrdB:sgprSrdB+3], s[sgprScalarGlobalReadOffsetB+2], offen offset:0 // G -> Reg 0_0_3_0
v_mfma_f32_16x16x4_f32 v[20+0:23+0], v[vgprValuB_X5_I0+2+0+0], v[vgprValuA_X5_I0+0+0+0+1], v[20:23]
 // Ci += Ai*Br
/*  mfmaIndex:86  */
v_mfma_f32_16x16x4_f32 v[4+0:7+0], v[vgprValuB_X5_I0+2+0+0+1], v151, v[4:7]
 // Cr += -Ai*Bi
/*  mfmaIndex:87  */
v_mfma_f32_16x16x4_f32 v[20+0:23+0], v[vgprValuB_X5_I0+2+0+0+1], v[vgprValuA_X5_I0+0+0+0], v[20:23]
 // Ci += Ar*Bi
/*  mfmaIndex:88  */
v_mfma_f32_16x16x4_f32 v[8+0:11+0], v[vgprValuB_X5_I0+4+0+0], v[vgprValuA_X5_I0+0+0+0], v[8:11]
 // Cr += Ar*Br
/*  mfmaIndex:89  */
v_mfma_f32_16x16x4_f32 v[24+0:27+0], v[vgprValuB_X5_I0+4+0+0], v[vgprValuA_X5_I0+0+0+0+1], v[24:27]
 // Ci += Ai*Br
/*  mfmaIndex:90  */
v_mfma_f32_16x16x4_f32 v[8+0:11+0], v[vgprValuB_X5_I0+4+0+0+1], v151, v[8:11]
 // Cr += -Ai*Bi
/*  mfmaIndex:91  */
v_mfma_f32_16x16x4_f32 v[24+0:27+0], v[vgprValuB_X5_I0+4+0+0+1], v[vgprValuA_X5_I0+0+0+0], v[24:27]
 // Ci += Ar*Bi
/*  mfmaIndex:92  */
v_mfma_f32_16x16x4_f32 v[12+0:15+0], v[vgprValuB_X5_I0+6+0+0], v[vgprValuA_X5_I0+0+0+0], v[12:15]
 // Cr += Ar*Br
/*  mfmaIndex:93  */
/* sched write - iter 5 writesPerItem=1 */
s_waitcnt vmcnt(0)                                 // lgkmcnt=-1 vmcnt=0wait for global read before writing to local
_ds_store_b64 v[vgprLocalWriteAddrB], v[vgprG2LB+8:vgprG2LB+8+1] offset:8448 // lwoB_0_0_4_0 = (0*LSCB)*(MT1J+PAD) + (4*LSPB) = 8448
v_mfma_f32_16x16x4_f32 v[28+0:31+0], v[vgprValuB_X5_I0+6+0+0], v[vgprValuA_X5_I0+0+0+0+1], v[28:31]
 // Ci += Ai*Br
/*  mfmaIndex:94  */
_buffer_load_b64 v[vgprG2LB+8:vgprG2LB+8+1], v[vgprGlobalReadOffsetB+0], s[sgprSrdB:sgprSrdB+3], s[sgprScalarGlobalReadOffsetB+3], offen offset:0 // G -> Reg 0_0_4_0
v_mfma_f32_16x16x4_f32 v[12+0:15+0], v[vgprValuB_X5_I0+6+0+0+1], v151, v[12:15]
 // Cr += -Ai*Bi
/*  mfmaIndex:95  */
v_mfma_f32_16x16x4_f32 v[28+0:31+0], v[vgprValuB_X5_I0+6+0+0+1], v[vgprValuA_X5_I0+0+0+0], v[28:31]
 // Ci += Ar*Bi


/* iter 6 (reset local read pointers iteration)  (swap local read pointers iteration)  */

/*  grEndMfmaIndex:4, lwStartMfmaIndex:24, lwEndMfmaIndex:120  */
/*  numMfmaForLR:5, barrierMfmaIndex:122, LocalWritePerMfma:0.115 */
/*  mfmaIndex:96  */
v_add_f32 v151, -v[vgprValuA_X6_I0+0+0+0+1], 0     // Ai=-Ai
v_mfma_f32_16x16x4_f32 v[0+0:3+0], v[vgprValuB_X6_I0+0+0+0], v[vgprValuA_X6_I0+0+0+0], v[0:3]
 // Cr += Ar*Br
/*  mfmaIndex:97  */
v_mfma_f32_16x16x4_f32 v[16+0:19+0], v[vgprValuB_X6_I0+0+0+0], v[vgprValuA_X6_I0+0+0+0+1], v[16:19]
 // Ci += Ai*Br
/*  mfmaIndex:98  */
v_mfma_f32_16x16x4_f32 v[0+0:3+0], v[vgprValuB_X6_I0+0+0+0+1], v151, v[0:3]
 // Cr += -Ai*Bi
/*  mfmaIndex:99  */
v_mfma_f32_16x16x4_f32 v[16+0:19+0], v[vgprValuB_X6_I0+0+0+0+1], v[vgprValuA_X6_I0+0+0+0], v[16:19]
 // Ci += Ar*Bi
/*  mfmaIndex:100  */
v_mfma_f32_16x16x4_f32 v[4+0:7+0], v[vgprValuB_X6_I0+2+0+0], v[vgprValuA_X6_I0+0+0+0], v[4:7]
 // Cr += Ar*Br
/*  mfmaIndex:101  */
v_mfma_f32_16x16x4_f32 v[20+0:23+0], v[vgprValuB_X6_I0+2+0+0], v[vgprValuA_X6_I0+0+0+0+1], v[20:23]
 // Ci += Ai*Br
/*  mfmaIndex:102  */
/* sched write - iter 6 writesPerItem=1 */
s_waitcnt vmcnt(0)                                 // lgkmcnt=-1 vmcnt=0wait for global read before writing to local
_ds_store_b64 v[vgprLocalWriteAddrB], v[vgprG2LB+10:vgprG2LB+10+1] offset:10560 // lwoB_0_0_5_0 = (0*LSCB)*(MT1J+PAD) + (5*LSPB) = 10560
v_mfma_f32_16x16x4_f32 v[4+0:7+0], v[vgprValuB_X6_I0+2+0+0+1], v151, v[4:7]
 // Cr += -Ai*Bi
/*  mfmaIndex:103  */
_buffer_load_b64 v[vgprG2LB+10:vgprG2LB+10+1], v[vgprGlobalReadOffsetB+0], s[sgprSrdB:sgprSrdB+3], s[sgprScalarGlobalReadOffsetB+4], offen offset:0 // G -> Reg 0_0_5_0
v_mfma_f32_16x16x4_f32 v[20+0:23+0], v[vgprValuB_X6_I0+2+0+0+1], v[vgprValuA_X6_I0+0+0+0], v[20:23]
 // Ci += Ar*Bi
/*  mfmaIndex:104  */
v_mfma_f32_16x16x4_f32 v[8+0:11+0], v[vgprValuB_X6_I0+4+0+0], v[vgprValuA_X6_I0+0+0+0], v[8:11]
 // Cr += Ar*Br
/*  mfmaIndex:105  */
v_mfma_f32_16x16x4_f32 v[24+0:27+0], v[vgprValuB_X6_I0+4+0+0], v[vgprValuA_X6_I0+0+0+0+1], v[24:27]
 // Ci += Ai*Br
/*  mfmaIndex:106  */
v_mfma_f32_16x16x4_f32 v[8+0:11+0], v[vgprValuB_X6_I0+4+0+0+1], v151, v[8:11]
 // Cr += -Ai*Bi
/*  mfmaIndex:107  */
v_mfma_f32_16x16x4_f32 v[24+0:27+0], v[vgprValuB_X6_I0+4+0+0+1], v[vgprValuA_X6_I0+0+0+0], v[24:27]
 // Ci += Ar*Bi
/*  mfmaIndex:108  */
v_mfma_f32_16x16x4_f32 v[12+0:15+0], v[vgprValuB_X6_I0+6+0+0], v[vgprValuA_X6_I0+0+0+0], v[12:15]
 // Cr += Ar*Br
/*  mfmaIndex:109  */
v_mfma_f32_16x16x4_f32 v[28+0:31+0], v[vgprValuB_X6_I0+6+0+0], v[vgprValuA_X6_I0+0+0+0+1], v[28:31]
 // Ci += Ai*Br
/*  mfmaIndex:110  */
/* sched write - iter 6 writesPerItem=1 */
s_waitcnt vmcnt(0)                                 // lgkmcnt=-1 vmcnt=0wait for global read before writing to local
_ds_store_b64 v[vgprLocalWriteAddrB], v[vgprG2LB+12:vgprG2LB+12+1] offset:12672 // lwoB_0_0_6_0 = (0*LSCB)*(MT1J+PAD) + (6*LSPB) = 12672
v_mfma_f32_16x16x4_f32 v[12+0:15+0], v[vgprValuB_X6_I0+6+0+0+1], v151, v[12:15]
 // Cr += -Ai*Bi
/*  mfmaIndex:111  */
_buffer_load_b64 v[vgprG2LB+12:vgprG2LB+12+1], v[vgprGlobalReadOffsetB+0], s[sgprSrdB:sgprSrdB+3], s[sgprScalarGlobalReadOffsetB+5], offen offset:0 // G -> Reg 0_0_6_0

/* local read swap offsets a */

/* local read swap offsets b */

/* local read init pointers a */

/* localReadInitPointers */

/* local read init pointers b */

/* localReadInitPointers */
v_mfma_f32_16x16x4_f32 v[28+0:31+0], v[vgprValuB_X6_I0+6+0+0+1], v[vgprValuA_X6_I0+0+0+0], v[28:31]
 // Ci += Ar*Bi


/* iter 7 (swap and reset local write pointers iteration)  */

/*  grEndMfmaIndex:4, lwStartMfmaIndex:24, lwEndMfmaIndex:120  */
/*  numMfmaForLR:5, barrierMfmaIndex:122, LocalWritePerMfma:0.115 */
/*  mfmaIndex:112  */
v_add_f32 v151, -v[vgprValuA_X7_I0+0+0+0+1], 0     // Ai=-Ai
v_mfma_f32_16x16x4_f32 v[0+0:3+0], v[vgprValuB_X7_I0+0+0+0], v[vgprValuA_X7_I0+0+0+0], v[0:3]
 // Cr += Ar*Br
/*  mfmaIndex:113  */
v_mfma_f32_16x16x4_f32 v[16+0:19+0], v[vgprValuB_X7_I0+0+0+0], v[vgprValuA_X7_I0+0+0+0+1], v[16:19]
 // Ci += Ai*Br
/*  mfmaIndex:114  */
v_mfma_f32_16x16x4_f32 v[0+0:3+0], v[vgprValuB_X7_I0+0+0+0+1], v151, v[0:3]
 // Cr += -Ai*Bi
/*  mfmaIndex:115  */
v_mfma_f32_16x16x4_f32 v[16+0:19+0], v[vgprValuB_X7_I0+0+0+0+1], v[vgprValuA_X7_I0+0+0+0], v[16:19]
 // Ci += Ar*Bi
/*  mfmaIndex:116  */
v_mfma_f32_16x16x4_f32 v[4+0:7+0], v[vgprValuB_X7_I0+2+0+0], v[vgprValuA_X7_I0+0+0+0], v[4:7]
 // Cr += Ar*Br
/*  mfmaIndex:117  */
v_mfma_f32_16x16x4_f32 v[20+0:23+0], v[vgprValuB_X7_I0+2+0+0], v[vgprValuA_X7_I0+0+0+0+1], v[20:23]
 // Ci += Ai*Br
/*  mfmaIndex:118  */
v_mfma_f32_16x16x4_f32 v[4+0:7+0], v[vgprValuB_X7_I0+2+0+0+1], v151, v[4:7]
 // Cr += -Ai*Bi
/*  mfmaIndex:119  */
/* sched write - iter 7 writesPerItem=1 */
s_waitcnt vmcnt(0)                                 // lgkmcnt=-1 vmcnt=0wait for global read before writing to local
_ds_store_b64 v[vgprLocalWriteAddrB], v[vgprG2LB+14:vgprG2LB+14+1] offset:14784 // lwoB_0_0_7_0 = (0*LSCB)*(MT1J+PAD) + (7*LSPB) = 14784
v_mfma_f32_16x16x4_f32 v[20+0:23+0], v[vgprValuB_X7_I0+2+0+0+1], v[vgprValuA_X7_I0+0+0+0], v[20:23]
 // Ci += Ar*Bi
/*  mfmaIndex:120  */
_buffer_load_b64 v[vgprG2LB+14:vgprG2LB+14+1], v[vgprGlobalReadOffsetB+0], s[sgprSrdB:sgprSrdB+3], s[sgprScalarGlobalReadOffsetB+6], offen offset:0 // G -> Reg 0_0_7_0

/* local write swap offsets a */

/* local write swap offsets b */
v_mfma_f32_16x16x4_f32 v[8+0:11+0], v[vgprValuB_X7_I0+4+0+0], v[vgprValuA_X7_I0+0+0+0], v[8:11]
 // Cr += Ar*Br
/*  mfmaIndex:121  */
v_mfma_f32_16x16x4_f32 v[24+0:27+0], v[vgprValuB_X7_I0+4+0+0], v[vgprValuA_X7_I0+0+0+0+1], v[24:27]
 // Ci += Ai*Br
/*  mfmaIndex:122  */
s_waitcnt lgkmcnt(0)                               // lgkmcnt=0 vmcnt=-13wait for local write
// Skip force waitcnt0
s_barrier //
v_mfma_f32_16x16x4_f32 v[8+0:11+0], v[vgprValuB_X7_I0+4+0+0+1], v151, v[8:11]
 // Cr += -Ai*Bi
/*  mfmaIndex:123  */
_ds_load_b64 v[vgprValuA_X0_I0+0:vgprValuA_X0_I0+0+1], v[vgprLocalReadAddrA] offset:0 // L -> Reg lro=0 swapByteOffset=0 ti=64 vIdx=0 rIdx=0 oIdx=0 buffer=0 iui=0
_ds_load_b64 v[vgprValuB_X0_I0+0:vgprValuB_X0_I0+0+1], v[vgprLocalReadAddrB] offset:0 // L -> Reg lro=0 swapByteOffset=0 ti=16 vIdx=0 rIdx=0 oIdx=0 buffer=0 iui=0
v_mfma_f32_16x16x4_f32 v[24+0:27+0], v[vgprValuB_X7_I0+4+0+0+1], v[vgprValuA_X7_I0+0+0+0], v[24:27]
 // Ci += Ar*Bi
/*  mfmaIndex:124  */
_ds_load_b64 v[vgprValuB_X0_I0+2:vgprValuB_X0_I0+2+1], v[vgprLocalReadAddrB] offset:4224 // L -> Reg lro=0 swapByteOffset=0 ti=16 vIdx=1 rIdx=0 oIdx=0 buffer=0 iui=0
_ds_load_b64 v[vgprValuB_X0_I0+4:vgprValuB_X0_I0+4+1], v[vgprLocalReadAddrB] offset:8448 // L -> Reg lro=0 swapByteOffset=0 ti=16 vIdx=2 rIdx=0 oIdx=0 buffer=0 iui=0
v_mfma_f32_16x16x4_f32 v[12+0:15+0], v[vgprValuB_X7_I0+6+0+0], v[vgprValuA_X7_I0+0+0+0], v[12:15]
 // Cr += Ar*Br
/*  mfmaIndex:125  */
_ds_load_b64 v[vgprValuB_X0_I0+6:vgprValuB_X0_I0+6+1], v[vgprLocalReadAddrB] offset:12672 // L -> Reg lro=0 swapByteOffset=0 ti=16 vIdx=3 rIdx=0 oIdx=0 buffer=0 iui=0
v_mfma_f32_16x16x4_f32 v[28+0:31+0], v[vgprValuB_X7_I0+6+0+0], v[vgprValuA_X7_I0+0+0+0+1], v[28:31]
 // Ci += Ai*Br
/*  mfmaIndex:126  */
v_mfma_f32_16x16x4_f32 v[12+0:15+0], v[vgprValuB_X7_I0+6+0+0+1], v151, v[12:15]
 // Cr += -Ai*Bi
/*  mfmaIndex:127  */
v_mfma_f32_16x16x4_f32 v[28+0:31+0], v[vgprValuB_X7_I0+6+0+0+1], v[vgprValuA_X7_I0+0+0+0], v[28:31]
 // Ci += Ar*Bi


/******************************************/
/* Unrolled Loop - End 2/2 (final)        */
/******************************************/


/* closeLoop loopL finalLoop=1 tailLoop=0 */
s_sub_u32 s[sgprLoopCounterL], s[sgprLoopCounterL], 1 // dec counterL
s_cmp_eq_i32 s[sgprLoopCounterL], 0x2              // counterL==2
s_cbranch_scc0 LoopBeginL_1                        // restart LoopL
LoopEndL_evenexit_4: // unroll loop eveniter exit
s_branch LoopEndL_2                                // exit unroll loopL (and skip second exit code)
LoopEndL_oddexit_3: // unroll loop odditer exit

/* Select high bank of LDS */
LoopEndL_2:


/* Before NLL: Check VGPR.checkin for INT8 LW */


/******************************************/
/* Ord. NoGlobalLoadLoop - Begin                                      */
/******************************************/


	;; [unrolled: 1-line block ×3, first 2 shown]
/* iter 0 */

/*  grEndMfmaIndex:4, lwStartMfmaIndex:24, lwEndMfmaIndex:120  */
/*  numMfmaForLR:5, barrierMfmaIndex:122, LocalWritePerMfma:0.115 */
/*  mfmaIndex:0  */
s_waitcnt lgkmcnt(0)                               // lgkmcnt=0 vmcnt=-1wait for prior local read local write old=0, new=0 newLW=0 newLR=0
v_add_f32 v151, -v[vgprValuA_X0_I0+0+0+0+1], 0     // Ai=-Ai
v_mfma_f32_16x16x4_f32 v[0+0:3+0], v[vgprValuB_X0_I0+0+0+0], v[vgprValuA_X0_I0+0+0+0], v[0:3]
 // Cr += Ar*Br
/*  mfmaIndex:1  */
_ds_load_b64 v[vgprValuA_X1_I0+0:vgprValuA_X1_I0+0+1], v[vgprLocalReadAddrA] offset:2048 // L -> Reg lro=256 swapByteOffset=0 ti=64 vIdx=0 rIdx=0 oIdx=0 buffer=1 iui=0
_ds_load_b64 v[vgprValuB_X1_I0+0:vgprValuB_X1_I0+0+1], v[vgprLocalReadAddrB] offset:32 // L -> Reg lro=4 swapByteOffset=0 ti=16 vIdx=0 rIdx=0 oIdx=0 buffer=1 iui=0

/* global read inc A loopL */
s_add_u32 s[sgprSrdA+0], s[sgprSrdA+0], s[sgprGlobalReadIncsA+0] // gra SRD += inc(lower)
s_addc_u32  s[sgprSrdA+1], s[sgprSrdA+1], 0        // gra SRD += inc(upper)
s_sub_u32 s[sgprShadowLimitA+0], s[sgprShadowLimitA+0], s[sgprGlobalReadIncsA+0] // limit -= inc)
v_mfma_f32_16x16x4_f32 v[16+0:19+0], v[vgprValuB_X0_I0+0+0+0], v[vgprValuA_X0_I0+0+0+0+1], v[16:19]
 // Ci += Ai*Br
/*  mfmaIndex:2  */
_ds_load_b64 v[vgprValuB_X1_I0+2:vgprValuB_X1_I0+2+1], v[vgprLocalReadAddrB] offset:4256 // L -> Reg lro=4 swapByteOffset=0 ti=16 vIdx=1 rIdx=0 oIdx=0 buffer=1 iui=0
_ds_load_b64 v[vgprValuB_X1_I0+4:vgprValuB_X1_I0+4+1], v[vgprLocalReadAddrB] offset:8480 // L -> Reg lro=4 swapByteOffset=0 ti=16 vIdx=2 rIdx=0 oIdx=0 buffer=1 iui=0
s_subb_u32 s[sgprShadowLimitA+1], s[sgprShadowLimitA+1], 0 // limit -= inc)
s_cmp_eq_u32 s[sgprShadowLimitA+1], 0              // are we within 2^32?
s_cmov_b32 s[sgprSrdA+2], s[sgprShadowLimitA+0]    // Move shadow to real if we are within 2^32
v_mfma_f32_16x16x4_f32 v[0+0:3+0], v[vgprValuB_X0_I0+0+0+0+1], v151, v[0:3]
 // Cr += -Ai*Bi
/*  mfmaIndex:3  */
_ds_load_b64 v[vgprValuB_X1_I0+6:vgprValuB_X1_I0+6+1], v[vgprLocalReadAddrB] offset:12704 // L -> Reg lro=4 swapByteOffset=0 ti=16 vIdx=3 rIdx=0 oIdx=0 buffer=1 iui=0
/* localReadsVacancy: latencyLeft 3 */
_ds_load_b64 v[vgprValuA_X2_I0+0:vgprValuA_X2_I0+0+1], v[vgprLocalReadAddrA] offset:4096 // L -> Reg lro=512 swapByteOffset=0 ti=64 vIdx=0 rIdx=0 oIdx=0 buffer=2 iui=0

/* global read inc B loopL */
s_add_u32 s[sgprSrdB+0], s[sgprSrdB+0], s[sgprGlobalReadIncsB+0] // gra SRD += inc(lower)
s_addc_u32  s[sgprSrdB+1], s[sgprSrdB+1], 0        // gra SRD += inc(upper)
s_sub_u32 s[sgprShadowLimitB+0], s[sgprShadowLimitB+0], s[sgprGlobalReadIncsB+0] // limit -= inc)
v_mfma_f32_16x16x4_f32 v[16+0:19+0], v[vgprValuB_X0_I0+0+0+0+1], v[vgprValuA_X0_I0+0+0+0], v[16:19]
 // Ci += Ar*Bi
/*  mfmaIndex:4  */
/* localReadsVacancy: latencyLeft 5 */
_ds_load_b64 v[vgprValuB_X2_I0+0:vgprValuB_X2_I0+0+1], v[vgprLocalReadAddrB] offset:64 // L -> Reg lro=8 swapByteOffset=0 ti=16 vIdx=0 rIdx=0 oIdx=0 buffer=2 iui=0
_ds_load_b64 v[vgprValuB_X2_I0+2:vgprValuB_X2_I0+2+1], v[vgprLocalReadAddrB] offset:4288 // L -> Reg lro=8 swapByteOffset=0 ti=16 vIdx=1 rIdx=0 oIdx=0 buffer=2 iui=0
s_subb_u32 s[sgprShadowLimitB+1], s[sgprShadowLimitB+1], 0 // limit -= inc)
s_cmp_eq_u32 s[sgprShadowLimitB+1], 0              // are we within 2^32?
s_cmov_b32 s[sgprSrdB+2], s[sgprShadowLimitB+0]    // Move shadow to real if we are within 2^32
v_mfma_f32_16x16x4_f32 v[4+0:7+0], v[vgprValuB_X0_I0+2+0+0], v[vgprValuA_X0_I0+0+0+0], v[4:7]
 // Cr += Ar*Br
/*  mfmaIndex:5  */
/* localReadsVacancy: latencyLeft 5 */
_ds_load_b64 v[vgprValuB_X2_I0+4:vgprValuB_X2_I0+4+1], v[vgprLocalReadAddrB] offset:8512 // L -> Reg lro=8 swapByteOffset=0 ti=16 vIdx=2 rIdx=0 oIdx=0 buffer=2 iui=0
_ds_load_b64 v[vgprValuB_X2_I0+6:vgprValuB_X2_I0+6+1], v[vgprLocalReadAddrB] offset:12736 // L -> Reg lro=8 swapByteOffset=0 ti=16 vIdx=3 rIdx=0 oIdx=0 buffer=2 iui=0
v_mfma_f32_16x16x4_f32 v[20+0:23+0], v[vgprValuB_X0_I0+2+0+0], v[vgprValuA_X0_I0+0+0+0+1], v[20:23]
 // Ci += Ai*Br
/*  mfmaIndex:6  */
/* localReadsVacancy: latencyLeft 5 */
_ds_load_b64 v[vgprValuA_X3_I0+0:vgprValuA_X3_I0+0+1], v[vgprLocalReadAddrA] offset:6144 // L -> Reg lro=768 swapByteOffset=0 ti=64 vIdx=0 rIdx=0 oIdx=0 buffer=3 iui=0
_ds_load_b64 v[vgprValuB_X3_I0+0:vgprValuB_X3_I0+0+1], v[vgprLocalReadAddrB] offset:96 // L -> Reg lro=12 swapByteOffset=0 ti=16 vIdx=0 rIdx=0 oIdx=0 buffer=3 iui=0
v_mfma_f32_16x16x4_f32 v[4+0:7+0], v[vgprValuB_X0_I0+2+0+0+1], v151, v[4:7]
 // Cr += -Ai*Bi
/*  mfmaIndex:7  */
/* localReadsVacancy: latencyLeft 5 */
_ds_load_b64 v[vgprValuB_X3_I0+2:vgprValuB_X3_I0+2+1], v[vgprLocalReadAddrB] offset:4320 // L -> Reg lro=12 swapByteOffset=0 ti=16 vIdx=1 rIdx=0 oIdx=0 buffer=3 iui=0
_ds_load_b64 v[vgprValuB_X3_I0+4:vgprValuB_X3_I0+4+1], v[vgprLocalReadAddrB] offset:8544 // L -> Reg lro=12 swapByteOffset=0 ti=16 vIdx=2 rIdx=0 oIdx=0 buffer=3 iui=0
v_mfma_f32_16x16x4_f32 v[20+0:23+0], v[vgprValuB_X0_I0+2+0+0+1], v[vgprValuA_X0_I0+0+0+0], v[20:23]
 // Ci += Ar*Bi
/*  mfmaIndex:8  */
/* localReadsVacancy: latencyLeft 5 */
_ds_load_b64 v[vgprValuB_X3_I0+6:vgprValuB_X3_I0+6+1], v[vgprLocalReadAddrB] offset:12768 // L -> Reg lro=12 swapByteOffset=0 ti=16 vIdx=3 rIdx=0 oIdx=0 buffer=3 iui=0
_ds_load_b64 v[vgprValuA_X4_I0+0:vgprValuA_X4_I0+0+1], v[vgprLocalReadAddrA] offset:8192 // L -> Reg lro=1024 swapByteOffset=0 ti=64 vIdx=0 rIdx=0 oIdx=0 buffer=4 iui=0
v_mfma_f32_16x16x4_f32 v[8+0:11+0], v[vgprValuB_X0_I0+4+0+0], v[vgprValuA_X0_I0+0+0+0], v[8:11]
 // Cr += Ar*Br
/*  mfmaIndex:9  */
/* localReadsVacancy: latencyLeft 5 */
_ds_load_b64 v[vgprValuB_X4_I0+0:vgprValuB_X4_I0+0+1], v[vgprLocalReadAddrB] offset:128 // L -> Reg lro=16 swapByteOffset=0 ti=16 vIdx=0 rIdx=0 oIdx=0 buffer=4 iui=0
_ds_load_b64 v[vgprValuB_X4_I0+2:vgprValuB_X4_I0+2+1], v[vgprLocalReadAddrB] offset:4352 // L -> Reg lro=16 swapByteOffset=0 ti=16 vIdx=1 rIdx=0 oIdx=0 buffer=4 iui=0
v_mfma_f32_16x16x4_f32 v[24+0:27+0], v[vgprValuB_X0_I0+4+0+0], v[vgprValuA_X0_I0+0+0+0+1], v[24:27]
 // Ci += Ai*Br
/*  mfmaIndex:10  */
/* localReadsVacancy: latencyLeft 5 */
_ds_load_b64 v[vgprValuB_X4_I0+4:vgprValuB_X4_I0+4+1], v[vgprLocalReadAddrB] offset:8576 // L -> Reg lro=16 swapByteOffset=0 ti=16 vIdx=2 rIdx=0 oIdx=0 buffer=4 iui=0
_ds_load_b64 v[vgprValuB_X4_I0+6:vgprValuB_X4_I0+6+1], v[vgprLocalReadAddrB] offset:12800 // L -> Reg lro=16 swapByteOffset=0 ti=16 vIdx=3 rIdx=0 oIdx=0 buffer=4 iui=0
v_mfma_f32_16x16x4_f32 v[8+0:11+0], v[vgprValuB_X0_I0+4+0+0+1], v151, v[8:11]
 // Cr += -Ai*Bi
/*  mfmaIndex:11  */
/* localReadsVacancy: latencyLeft 5 */
_ds_load_b64 v[vgprValuA_X5_I0+0:vgprValuA_X5_I0+0+1], v[vgprLocalReadAddrA] offset:10240 // L -> Reg lro=1280 swapByteOffset=0 ti=64 vIdx=0 rIdx=0 oIdx=0 buffer=5 iui=0
_ds_load_b64 v[vgprValuB_X5_I0+0:vgprValuB_X5_I0+0+1], v[vgprLocalReadAddrB] offset:160 // L -> Reg lro=20 swapByteOffset=0 ti=16 vIdx=0 rIdx=0 oIdx=0 buffer=5 iui=0
v_mfma_f32_16x16x4_f32 v[24+0:27+0], v[vgprValuB_X0_I0+4+0+0+1], v[vgprValuA_X0_I0+0+0+0], v[24:27]
 // Ci += Ar*Bi
/*  mfmaIndex:12  */
/* localReadsVacancy: latencyLeft 5 */
_ds_load_b64 v[vgprValuB_X5_I0+2:vgprValuB_X5_I0+2+1], v[vgprLocalReadAddrB] offset:4384 // L -> Reg lro=20 swapByteOffset=0 ti=16 vIdx=1 rIdx=0 oIdx=0 buffer=5 iui=0
_ds_load_b64 v[vgprValuB_X5_I0+4:vgprValuB_X5_I0+4+1], v[vgprLocalReadAddrB] offset:8608 // L -> Reg lro=20 swapByteOffset=0 ti=16 vIdx=2 rIdx=0 oIdx=0 buffer=5 iui=0
v_mfma_f32_16x16x4_f32 v[12+0:15+0], v[vgprValuB_X0_I0+6+0+0], v[vgprValuA_X0_I0+0+0+0], v[12:15]
 // Cr += Ar*Br
/*  mfmaIndex:13  */
/* localReadsVacancy: latencyLeft 5 */
_ds_load_b64 v[vgprValuB_X5_I0+6:vgprValuB_X5_I0+6+1], v[vgprLocalReadAddrB] offset:12832 // L -> Reg lro=20 swapByteOffset=0 ti=16 vIdx=3 rIdx=0 oIdx=0 buffer=5 iui=0
_ds_load_b64 v[vgprValuA_X6_I0+0:vgprValuA_X6_I0+0+1], v[vgprLocalReadAddrA] offset:12288 // L -> Reg lro=1536 swapByteOffset=0 ti=64 vIdx=0 rIdx=0 oIdx=0 buffer=6 iui=0
v_mfma_f32_16x16x4_f32 v[28+0:31+0], v[vgprValuB_X0_I0+6+0+0], v[vgprValuA_X0_I0+0+0+0+1], v[28:31]
 // Ci += Ai*Br
/*  mfmaIndex:14  */
/* localReadsVacancy: latencyLeft 5 */
_ds_load_b64 v[vgprValuB_X6_I0+0:vgprValuB_X6_I0+0+1], v[vgprLocalReadAddrB] offset:192 // L -> Reg lro=24 swapByteOffset=0 ti=16 vIdx=0 rIdx=0 oIdx=0 buffer=6 iui=0
_ds_load_b64 v[vgprValuB_X6_I0+2:vgprValuB_X6_I0+2+1], v[vgprLocalReadAddrB] offset:4416 // L -> Reg lro=24 swapByteOffset=0 ti=16 vIdx=1 rIdx=0 oIdx=0 buffer=6 iui=0
v_mfma_f32_16x16x4_f32 v[12+0:15+0], v[vgprValuB_X0_I0+6+0+0+1], v151, v[12:15]
 // Cr += -Ai*Bi
/*  mfmaIndex:15  */
/* localReadsVacancy: latencyLeft 5 */
_ds_load_b64 v[vgprValuB_X6_I0+4:vgprValuB_X6_I0+4+1], v[vgprLocalReadAddrB] offset:8640 // L -> Reg lro=24 swapByteOffset=0 ti=16 vIdx=2 rIdx=0 oIdx=0 buffer=6 iui=0
_ds_load_b64 v[vgprValuB_X6_I0+6:vgprValuB_X6_I0+6+1], v[vgprLocalReadAddrB] offset:12864 // L -> Reg lro=24 swapByteOffset=0 ti=16 vIdx=3 rIdx=0 oIdx=0 buffer=6 iui=0
v_mfma_f32_16x16x4_f32 v[28+0:31+0], v[vgprValuB_X0_I0+6+0+0+1], v[vgprValuA_X0_I0+0+0+0], v[28:31]
 // Ci += Ar*Bi
/* numPrefetchIter=0 */
/* dataAtIterA=-1 numReadsIterA=1 skipReadsIterA=1 readsPerIterA=1 */
/* dataAtIterB=-1 numReadsIterB=1 skipReadsIterB=1 readsPerIterB=4 */


/* iter 1 */

/*  grEndMfmaIndex:4, lwStartMfmaIndex:24, lwEndMfmaIndex:120  */
/*  numMfmaForLR:5, barrierMfmaIndex:122, LocalWritePerMfma:0.115 */
/*  mfmaIndex:16  */
/* localReadsVacancy: latencyLeft 5 */
_ds_load_b64 v[vgprValuA_X7_I0+0:vgprValuA_X7_I0+0+1], v[vgprLocalReadAddrA] offset:14336 // L -> Reg lro=1792 swapByteOffset=0 ti=64 vIdx=0 rIdx=0 oIdx=0 buffer=7 iui=0
_ds_load_b64 v[vgprValuB_X7_I0+0:vgprValuB_X7_I0+0+1], v[vgprLocalReadAddrB] offset:224 // L -> Reg lro=28 swapByteOffset=0 ti=16 vIdx=0 rIdx=0 oIdx=0 buffer=7 iui=0
s_waitcnt lgkmcnt(15)                              // lgkmcnt=0 vmcnt=-1wait for prior local read local write old=5, new=5 newLW=0 newLR=0
v_add_f32 v151, -v[vgprValuA_X1_I0+0+0+0+1], 0     // Ai=-Ai
v_mfma_f32_16x16x4_f32 v[0+0:3+0], v[vgprValuB_X1_I0+0+0+0], v[vgprValuA_X1_I0+0+0+0], v[0:3]
 // Cr += Ar*Br
/*  mfmaIndex:17  */
/* localReadsVacancy: latencyLeft 5 */
_ds_load_b64 v[vgprValuB_X7_I0+2:vgprValuB_X7_I0+2+1], v[vgprLocalReadAddrB] offset:4448 // L -> Reg lro=28 swapByteOffset=0 ti=16 vIdx=1 rIdx=0 oIdx=0 buffer=7 iui=0
_ds_load_b64 v[vgprValuB_X7_I0+4:vgprValuB_X7_I0+4+1], v[vgprLocalReadAddrB] offset:8672 // L -> Reg lro=28 swapByteOffset=0 ti=16 vIdx=2 rIdx=0 oIdx=0 buffer=7 iui=0
v_mfma_f32_16x16x4_f32 v[16+0:19+0], v[vgprValuB_X1_I0+0+0+0], v[vgprValuA_X1_I0+0+0+0+1], v[16:19]
 // Ci += Ai*Br
/*  mfmaIndex:18  */
/* localReadsVacancy: latencyLeft 5 */
_ds_load_b64 v[vgprValuB_X7_I0+6:vgprValuB_X7_I0+6+1], v[vgprLocalReadAddrB] offset:12896 // L -> Reg lro=28 swapByteOffset=0 ti=16 vIdx=3 rIdx=0 oIdx=0 buffer=7 iui=0
v_mfma_f32_16x16x4_f32 v[0+0:3+0], v[vgprValuB_X1_I0+0+0+0+1], v151, v[0:3]
 // Cr += -Ai*Bi
/*  mfmaIndex:19  */
/* localReadsVacancy: latencyLeft 5 */
v_mfma_f32_16x16x4_f32 v[16+0:19+0], v[vgprValuB_X1_I0+0+0+0+1], v[vgprValuA_X1_I0+0+0+0], v[16:19]
 // Ci += Ar*Bi
/*  mfmaIndex:20  */
/* localReadsVacancy: latencyLeft 5 */
v_mfma_f32_16x16x4_f32 v[4+0:7+0], v[vgprValuB_X1_I0+2+0+0], v[vgprValuA_X1_I0+0+0+0], v[4:7]
 // Cr += Ar*Br
/*  mfmaIndex:21  */
/* localReadsVacancy: latencyLeft 5 */
v_mfma_f32_16x16x4_f32 v[20+0:23+0], v[vgprValuB_X1_I0+2+0+0], v[vgprValuA_X1_I0+0+0+0+1], v[20:23]
 // Ci += Ai*Br
/*  mfmaIndex:22  */
/* localReadsVacancy: latencyLeft 5 */
v_mfma_f32_16x16x4_f32 v[4+0:7+0], v[vgprValuB_X1_I0+2+0+0+1], v151, v[4:7]
 // Cr += -Ai*Bi
/*  mfmaIndex:23  */
/* localReadsVacancy: latencyLeft 5 */
/* 1 LDS buffer: read-sync-write */
s_waitcnt lgkmcnt(0)                               // 
s_barrier                                          // 
v_mfma_f32_16x16x4_f32 v[20+0:23+0], v[vgprValuB_X1_I0+2+0+0+1], v[vgprValuA_X1_I0+0+0+0], v[20:23]
 // Ci += Ar*Bi
/*  mfmaIndex:24  */
/* sched write - iter 1 writesPerItem=1 */
s_waitcnt vmcnt(0)                                 // lgkmcnt=-1 vmcnt=0wait for global read before writing to local
_ds_store_b128 v[vgprLocalWriteAddrA], v[vgprG2LA+0:vgprG2LA+0+3] offset:0 // lwoA_0_0_0_0 = (0*LSCA) + (0*LSPA)(*MT0I+PAD) = 0
v_mfma_f32_16x16x4_f32 v[8+0:11+0], v[vgprValuB_X1_I0+4+0+0], v[vgprValuA_X1_I0+0+0+0], v[8:11]
 // Cr += Ar*Br
/*  mfmaIndex:25  */
v_mfma_f32_16x16x4_f32 v[24+0:27+0], v[vgprValuB_X1_I0+4+0+0], v[vgprValuA_X1_I0+0+0+0+1], v[24:27]
 // Ci += Ai*Br
/*  mfmaIndex:26  */
v_mfma_f32_16x16x4_f32 v[8+0:11+0], v[vgprValuB_X1_I0+4+0+0+1], v151, v[8:11]
 // Cr += -Ai*Bi
/*  mfmaIndex:27  */
v_mfma_f32_16x16x4_f32 v[24+0:27+0], v[vgprValuB_X1_I0+4+0+0+1], v[vgprValuA_X1_I0+0+0+0], v[24:27]
 // Ci += Ar*Bi
/*  mfmaIndex:28  */
v_mfma_f32_16x16x4_f32 v[12+0:15+0], v[vgprValuB_X1_I0+6+0+0], v[vgprValuA_X1_I0+0+0+0], v[12:15]
 // Cr += Ar*Br
/*  mfmaIndex:29  */
v_mfma_f32_16x16x4_f32 v[28+0:31+0], v[vgprValuB_X1_I0+6+0+0], v[vgprValuA_X1_I0+0+0+0+1], v[28:31]
 // Ci += Ai*Br
/*  mfmaIndex:30  */
v_mfma_f32_16x16x4_f32 v[12+0:15+0], v[vgprValuB_X1_I0+6+0+0+1], v151, v[12:15]
 // Cr += -Ai*Bi
/*  mfmaIndex:31  */
v_mfma_f32_16x16x4_f32 v[28+0:31+0], v[vgprValuB_X1_I0+6+0+0+1], v[vgprValuA_X1_I0+0+0+0], v[28:31]
 // Ci += Ar*Bi
/* numPrefetchIter=0 */
/* dataAtIterA=0 numReadsIterA=2 skipReadsIterA=1 readsPerIterA=1 */
/* dataAtIterB=0 numReadsIterB=2 skipReadsIterB=1 readsPerIterB=4 */


/* iter 2 */

/*  grEndMfmaIndex:4, lwStartMfmaIndex:24, lwEndMfmaIndex:120  */
/*  numMfmaForLR:5, barrierMfmaIndex:122, LocalWritePerMfma:0.115 */
/*  mfmaIndex:32  */
/* sched write - iter 2 writesPerItem=1 */
s_waitcnt vmcnt(0)                                 // lgkmcnt=-1 vmcnt=0wait for global read before writing to local
_ds_store_b128 v[vgprLocalWriteAddrA], v[vgprG2LA+4:vgprG2LA+4+3] offset:4096 // lwoA_0_0_1_0 = (0*LSCA) + (1*LSPA)(*MT0I+PAD) = 4096
v_add_f32 v151, -v[vgprValuA_X2_I0+0+0+0+1], 0     // Ai=-Ai
v_mfma_f32_16x16x4_f32 v[0+0:3+0], v[vgprValuB_X2_I0+0+0+0], v[vgprValuA_X2_I0+0+0+0], v[0:3]
 // Cr += Ar*Br
/*  mfmaIndex:33  */
v_mfma_f32_16x16x4_f32 v[16+0:19+0], v[vgprValuB_X2_I0+0+0+0], v[vgprValuA_X2_I0+0+0+0+1], v[16:19]
 // Ci += Ai*Br
/*  mfmaIndex:34  */
v_mfma_f32_16x16x4_f32 v[0+0:3+0], v[vgprValuB_X2_I0+0+0+0+1], v151, v[0:3]
 // Cr += -Ai*Bi
/*  mfmaIndex:35  */
v_mfma_f32_16x16x4_f32 v[16+0:19+0], v[vgprValuB_X2_I0+0+0+0+1], v[vgprValuA_X2_I0+0+0+0], v[16:19]
 // Ci += Ar*Bi
/*  mfmaIndex:36  */
v_mfma_f32_16x16x4_f32 v[4+0:7+0], v[vgprValuB_X2_I0+2+0+0], v[vgprValuA_X2_I0+0+0+0], v[4:7]
 // Cr += Ar*Br
/*  mfmaIndex:37  */
v_mfma_f32_16x16x4_f32 v[20+0:23+0], v[vgprValuB_X2_I0+2+0+0], v[vgprValuA_X2_I0+0+0+0+1], v[20:23]
 // Ci += Ai*Br
/*  mfmaIndex:38  */
v_mfma_f32_16x16x4_f32 v[4+0:7+0], v[vgprValuB_X2_I0+2+0+0+1], v151, v[4:7]
 // Cr += -Ai*Bi
/*  mfmaIndex:39  */
v_mfma_f32_16x16x4_f32 v[20+0:23+0], v[vgprValuB_X2_I0+2+0+0+1], v[vgprValuA_X2_I0+0+0+0], v[20:23]
 // Ci += Ar*Bi
/*  mfmaIndex:40  */
v_mfma_f32_16x16x4_f32 v[8+0:11+0], v[vgprValuB_X2_I0+4+0+0], v[vgprValuA_X2_I0+0+0+0], v[8:11]
 // Cr += Ar*Br
/*  mfmaIndex:41  */
/* sched write - iter 2 writesPerItem=1 */
s_waitcnt vmcnt(0)                                 // lgkmcnt=-1 vmcnt=0wait for global read before writing to local
_ds_store_b128 v[vgprLocalWriteAddrA], v[vgprG2LA+8:vgprG2LA+8+3] offset:8192 // lwoA_0_0_2_0 = (0*LSCA) + (2*LSPA)(*MT0I+PAD) = 8192
v_mfma_f32_16x16x4_f32 v[24+0:27+0], v[vgprValuB_X2_I0+4+0+0], v[vgprValuA_X2_I0+0+0+0+1], v[24:27]
 // Ci += Ai*Br
/*  mfmaIndex:42  */
v_mfma_f32_16x16x4_f32 v[8+0:11+0], v[vgprValuB_X2_I0+4+0+0+1], v151, v[8:11]
 // Cr += -Ai*Bi
/*  mfmaIndex:43  */
v_mfma_f32_16x16x4_f32 v[24+0:27+0], v[vgprValuB_X2_I0+4+0+0+1], v[vgprValuA_X2_I0+0+0+0], v[24:27]
 // Ci += Ar*Bi
/*  mfmaIndex:44  */
v_mfma_f32_16x16x4_f32 v[12+0:15+0], v[vgprValuB_X2_I0+6+0+0], v[vgprValuA_X2_I0+0+0+0], v[12:15]
 // Cr += Ar*Br
/*  mfmaIndex:45  */
v_mfma_f32_16x16x4_f32 v[28+0:31+0], v[vgprValuB_X2_I0+6+0+0], v[vgprValuA_X2_I0+0+0+0+1], v[28:31]
 // Ci += Ai*Br
/*  mfmaIndex:46  */
v_mfma_f32_16x16x4_f32 v[12+0:15+0], v[vgprValuB_X2_I0+6+0+0+1], v151, v[12:15]
 // Cr += -Ai*Bi
/*  mfmaIndex:47  */
v_mfma_f32_16x16x4_f32 v[28+0:31+0], v[vgprValuB_X2_I0+6+0+0+1], v[vgprValuA_X2_I0+0+0+0], v[28:31]
 // Ci += Ar*Bi


/* iter 3 */

/*  grEndMfmaIndex:4, lwStartMfmaIndex:24, lwEndMfmaIndex:120  */
/*  numMfmaForLR:5, barrierMfmaIndex:122, LocalWritePerMfma:0.115 */
/*  mfmaIndex:48  */
v_add_f32 v151, -v[vgprValuA_X3_I0+0+0+0+1], 0     // Ai=-Ai
v_mfma_f32_16x16x4_f32 v[0+0:3+0], v[vgprValuB_X3_I0+0+0+0], v[vgprValuA_X3_I0+0+0+0], v[0:3]
 // Cr += Ar*Br
/*  mfmaIndex:49  */
v_mfma_f32_16x16x4_f32 v[16+0:19+0], v[vgprValuB_X3_I0+0+0+0], v[vgprValuA_X3_I0+0+0+0+1], v[16:19]
 // Ci += Ai*Br
/*  mfmaIndex:50  */
/* sched write - iter 3 writesPerItem=1 */
s_waitcnt vmcnt(0)                                 // lgkmcnt=-1 vmcnt=0wait for global read before writing to local
_ds_store_b128 v[vgprLocalWriteAddrA], v[vgprG2LA+12:vgprG2LA+12+3] offset:12288 // lwoA_0_0_3_0 = (0*LSCA) + (3*LSPA)(*MT0I+PAD) = 12288
v_mfma_f32_16x16x4_f32 v[0+0:3+0], v[vgprValuB_X3_I0+0+0+0+1], v151, v[0:3]
 // Cr += -Ai*Bi
/*  mfmaIndex:51  */
v_mfma_f32_16x16x4_f32 v[16+0:19+0], v[vgprValuB_X3_I0+0+0+0+1], v[vgprValuA_X3_I0+0+0+0], v[16:19]
 // Ci += Ar*Bi
/*  mfmaIndex:52  */
v_mfma_f32_16x16x4_f32 v[4+0:7+0], v[vgprValuB_X3_I0+2+0+0], v[vgprValuA_X3_I0+0+0+0], v[4:7]
 // Cr += Ar*Br
/*  mfmaIndex:53  */
v_mfma_f32_16x16x4_f32 v[20+0:23+0], v[vgprValuB_X3_I0+2+0+0], v[vgprValuA_X3_I0+0+0+0+1], v[20:23]
 // Ci += Ai*Br
/*  mfmaIndex:54  */
v_mfma_f32_16x16x4_f32 v[4+0:7+0], v[vgprValuB_X3_I0+2+0+0+1], v151, v[4:7]
 // Cr += -Ai*Bi
/*  mfmaIndex:55  */
v_mfma_f32_16x16x4_f32 v[20+0:23+0], v[vgprValuB_X3_I0+2+0+0+1], v[vgprValuA_X3_I0+0+0+0], v[20:23]
 // Ci += Ar*Bi
/*  mfmaIndex:56  */
v_mfma_f32_16x16x4_f32 v[8+0:11+0], v[vgprValuB_X3_I0+4+0+0], v[vgprValuA_X3_I0+0+0+0], v[8:11]
 // Cr += Ar*Br
/*  mfmaIndex:57  */
v_mfma_f32_16x16x4_f32 v[24+0:27+0], v[vgprValuB_X3_I0+4+0+0], v[vgprValuA_X3_I0+0+0+0+1], v[24:27]
 // Ci += Ai*Br
/*  mfmaIndex:58  */
/* sched write - iter 3 writesPerItem=1 */
s_waitcnt vmcnt(0)                                 // lgkmcnt=-1 vmcnt=0wait for global read before writing to local
_ds_store_b64 v[vgprLocalWriteAddrB], v[vgprG2LB+0:vgprG2LB+0+1] offset:0 // lwoB_0_0_0_0 = (0*LSCB)*(MT1J+PAD) + (0*LSPB) = 0
v_mfma_f32_16x16x4_f32 v[8+0:11+0], v[vgprValuB_X3_I0+4+0+0+1], v151, v[8:11]
 // Cr += -Ai*Bi
/*  mfmaIndex:59  */
v_mfma_f32_16x16x4_f32 v[24+0:27+0], v[vgprValuB_X3_I0+4+0+0+1], v[vgprValuA_X3_I0+0+0+0], v[24:27]
 // Ci += Ar*Bi
/*  mfmaIndex:60  */
v_mfma_f32_16x16x4_f32 v[12+0:15+0], v[vgprValuB_X3_I0+6+0+0], v[vgprValuA_X3_I0+0+0+0], v[12:15]
 // Cr += Ar*Br
/*  mfmaIndex:61  */
v_mfma_f32_16x16x4_f32 v[28+0:31+0], v[vgprValuB_X3_I0+6+0+0], v[vgprValuA_X3_I0+0+0+0+1], v[28:31]
 // Ci += Ai*Br
/*  mfmaIndex:62  */
v_mfma_f32_16x16x4_f32 v[12+0:15+0], v[vgprValuB_X3_I0+6+0+0+1], v151, v[12:15]
 // Cr += -Ai*Bi
/*  mfmaIndex:63  */
v_mfma_f32_16x16x4_f32 v[28+0:31+0], v[vgprValuB_X3_I0+6+0+0+1], v[vgprValuA_X3_I0+0+0+0], v[28:31]
 // Ci += Ar*Bi


/* iter 4 */

/*  grEndMfmaIndex:4, lwStartMfmaIndex:24, lwEndMfmaIndex:120  */
/*  numMfmaForLR:5, barrierMfmaIndex:122, LocalWritePerMfma:0.115 */
/*  mfmaIndex:64  */
v_add_f32 v151, -v[vgprValuA_X4_I0+0+0+0+1], 0     // Ai=-Ai
v_mfma_f32_16x16x4_f32 v[0+0:3+0], v[vgprValuB_X4_I0+0+0+0], v[vgprValuA_X4_I0+0+0+0], v[0:3]
 // Cr += Ar*Br
/*  mfmaIndex:65  */
v_mfma_f32_16x16x4_f32 v[16+0:19+0], v[vgprValuB_X4_I0+0+0+0], v[vgprValuA_X4_I0+0+0+0+1], v[16:19]
 // Ci += Ai*Br
/*  mfmaIndex:66  */
v_mfma_f32_16x16x4_f32 v[0+0:3+0], v[vgprValuB_X4_I0+0+0+0+1], v151, v[0:3]
 // Cr += -Ai*Bi
/*  mfmaIndex:67  */
/* sched write - iter 4 writesPerItem=1 */
s_waitcnt vmcnt(0)                                 // lgkmcnt=-1 vmcnt=0wait for global read before writing to local
_ds_store_b64 v[vgprLocalWriteAddrB], v[vgprG2LB+2:vgprG2LB+2+1] offset:2112 // lwoB_0_0_1_0 = (0*LSCB)*(MT1J+PAD) + (1*LSPB) = 2112
v_mfma_f32_16x16x4_f32 v[16+0:19+0], v[vgprValuB_X4_I0+0+0+0+1], v[vgprValuA_X4_I0+0+0+0], v[16:19]
 // Ci += Ar*Bi
/*  mfmaIndex:68  */
v_mfma_f32_16x16x4_f32 v[4+0:7+0], v[vgprValuB_X4_I0+2+0+0], v[vgprValuA_X4_I0+0+0+0], v[4:7]
 // Cr += Ar*Br
/*  mfmaIndex:69  */
v_mfma_f32_16x16x4_f32 v[20+0:23+0], v[vgprValuB_X4_I0+2+0+0], v[vgprValuA_X4_I0+0+0+0+1], v[20:23]
 // Ci += Ai*Br
/*  mfmaIndex:70  */
v_mfma_f32_16x16x4_f32 v[4+0:7+0], v[vgprValuB_X4_I0+2+0+0+1], v151, v[4:7]
 // Cr += -Ai*Bi
/*  mfmaIndex:71  */
v_mfma_f32_16x16x4_f32 v[20+0:23+0], v[vgprValuB_X4_I0+2+0+0+1], v[vgprValuA_X4_I0+0+0+0], v[20:23]
 // Ci += Ar*Bi
/*  mfmaIndex:72  */
v_mfma_f32_16x16x4_f32 v[8+0:11+0], v[vgprValuB_X4_I0+4+0+0], v[vgprValuA_X4_I0+0+0+0], v[8:11]
 // Cr += Ar*Br
/*  mfmaIndex:73  */
v_mfma_f32_16x16x4_f32 v[24+0:27+0], v[vgprValuB_X4_I0+4+0+0], v[vgprValuA_X4_I0+0+0+0+1], v[24:27]
 // Ci += Ai*Br
/*  mfmaIndex:74  */
v_mfma_f32_16x16x4_f32 v[8+0:11+0], v[vgprValuB_X4_I0+4+0+0+1], v151, v[8:11]
 // Cr += -Ai*Bi
/*  mfmaIndex:75  */
v_mfma_f32_16x16x4_f32 v[24+0:27+0], v[vgprValuB_X4_I0+4+0+0+1], v[vgprValuA_X4_I0+0+0+0], v[24:27]
 // Ci += Ar*Bi
/*  mfmaIndex:76  */
/* sched write - iter 4 writesPerItem=1 */
s_waitcnt vmcnt(0)                                 // lgkmcnt=-1 vmcnt=0wait for global read before writing to local
_ds_store_b64 v[vgprLocalWriteAddrB], v[vgprG2LB+4:vgprG2LB+4+1] offset:4224 // lwoB_0_0_2_0 = (0*LSCB)*(MT1J+PAD) + (2*LSPB) = 4224
v_mfma_f32_16x16x4_f32 v[12+0:15+0], v[vgprValuB_X4_I0+6+0+0], v[vgprValuA_X4_I0+0+0+0], v[12:15]
 // Cr += Ar*Br
/*  mfmaIndex:77  */
v_mfma_f32_16x16x4_f32 v[28+0:31+0], v[vgprValuB_X4_I0+6+0+0], v[vgprValuA_X4_I0+0+0+0+1], v[28:31]
 // Ci += Ai*Br
/*  mfmaIndex:78  */
v_mfma_f32_16x16x4_f32 v[12+0:15+0], v[vgprValuB_X4_I0+6+0+0+1], v151, v[12:15]
 // Cr += -Ai*Bi
/*  mfmaIndex:79  */
v_mfma_f32_16x16x4_f32 v[28+0:31+0], v[vgprValuB_X4_I0+6+0+0+1], v[vgprValuA_X4_I0+0+0+0], v[28:31]
 // Ci += Ar*Bi


/* iter 5 */

/*  grEndMfmaIndex:4, lwStartMfmaIndex:24, lwEndMfmaIndex:120  */
/*  numMfmaForLR:5, barrierMfmaIndex:122, LocalWritePerMfma:0.115 */
/*  mfmaIndex:80  */
v_add_f32 v151, -v[vgprValuA_X5_I0+0+0+0+1], 0     // Ai=-Ai
v_mfma_f32_16x16x4_f32 v[0+0:3+0], v[vgprValuB_X5_I0+0+0+0], v[vgprValuA_X5_I0+0+0+0], v[0:3]
 // Cr += Ar*Br
/*  mfmaIndex:81  */
v_mfma_f32_16x16x4_f32 v[16+0:19+0], v[vgprValuB_X5_I0+0+0+0], v[vgprValuA_X5_I0+0+0+0+1], v[16:19]
 // Ci += Ai*Br
/*  mfmaIndex:82  */
v_mfma_f32_16x16x4_f32 v[0+0:3+0], v[vgprValuB_X5_I0+0+0+0+1], v151, v[0:3]
 // Cr += -Ai*Bi
/*  mfmaIndex:83  */
v_mfma_f32_16x16x4_f32 v[16+0:19+0], v[vgprValuB_X5_I0+0+0+0+1], v[vgprValuA_X5_I0+0+0+0], v[16:19]
 // Ci += Ar*Bi
/*  mfmaIndex:84  */
/* sched write - iter 5 writesPerItem=1 */
s_waitcnt vmcnt(0)                                 // lgkmcnt=-1 vmcnt=0wait for global read before writing to local
_ds_store_b64 v[vgprLocalWriteAddrB], v[vgprG2LB+6:vgprG2LB+6+1] offset:6336 // lwoB_0_0_3_0 = (0*LSCB)*(MT1J+PAD) + (3*LSPB) = 6336
v_mfma_f32_16x16x4_f32 v[4+0:7+0], v[vgprValuB_X5_I0+2+0+0], v[vgprValuA_X5_I0+0+0+0], v[4:7]
 // Cr += Ar*Br
/*  mfmaIndex:85  */
v_mfma_f32_16x16x4_f32 v[20+0:23+0], v[vgprValuB_X5_I0+2+0+0], v[vgprValuA_X5_I0+0+0+0+1], v[20:23]
 // Ci += Ai*Br
/*  mfmaIndex:86  */
v_mfma_f32_16x16x4_f32 v[4+0:7+0], v[vgprValuB_X5_I0+2+0+0+1], v151, v[4:7]
 // Cr += -Ai*Bi
/*  mfmaIndex:87  */
v_mfma_f32_16x16x4_f32 v[20+0:23+0], v[vgprValuB_X5_I0+2+0+0+1], v[vgprValuA_X5_I0+0+0+0], v[20:23]
 // Ci += Ar*Bi
/*  mfmaIndex:88  */
v_mfma_f32_16x16x4_f32 v[8+0:11+0], v[vgprValuB_X5_I0+4+0+0], v[vgprValuA_X5_I0+0+0+0], v[8:11]
 // Cr += Ar*Br
/*  mfmaIndex:89  */
v_mfma_f32_16x16x4_f32 v[24+0:27+0], v[vgprValuB_X5_I0+4+0+0], v[vgprValuA_X5_I0+0+0+0+1], v[24:27]
 // Ci += Ai*Br
/*  mfmaIndex:90  */
v_mfma_f32_16x16x4_f32 v[8+0:11+0], v[vgprValuB_X5_I0+4+0+0+1], v151, v[8:11]
 // Cr += -Ai*Bi
/*  mfmaIndex:91  */
v_mfma_f32_16x16x4_f32 v[24+0:27+0], v[vgprValuB_X5_I0+4+0+0+1], v[vgprValuA_X5_I0+0+0+0], v[24:27]
 // Ci += Ar*Bi
/*  mfmaIndex:92  */
v_mfma_f32_16x16x4_f32 v[12+0:15+0], v[vgprValuB_X5_I0+6+0+0], v[vgprValuA_X5_I0+0+0+0], v[12:15]
 // Cr += Ar*Br
/*  mfmaIndex:93  */
/* sched write - iter 5 writesPerItem=1 */
s_waitcnt vmcnt(0)                                 // lgkmcnt=-1 vmcnt=0wait for global read before writing to local
_ds_store_b64 v[vgprLocalWriteAddrB], v[vgprG2LB+8:vgprG2LB+8+1] offset:8448 // lwoB_0_0_4_0 = (0*LSCB)*(MT1J+PAD) + (4*LSPB) = 8448
v_mfma_f32_16x16x4_f32 v[28+0:31+0], v[vgprValuB_X5_I0+6+0+0], v[vgprValuA_X5_I0+0+0+0+1], v[28:31]
 // Ci += Ai*Br
/*  mfmaIndex:94  */
v_mfma_f32_16x16x4_f32 v[12+0:15+0], v[vgprValuB_X5_I0+6+0+0+1], v151, v[12:15]
 // Cr += -Ai*Bi
/*  mfmaIndex:95  */
v_mfma_f32_16x16x4_f32 v[28+0:31+0], v[vgprValuB_X5_I0+6+0+0+1], v[vgprValuA_X5_I0+0+0+0], v[28:31]
 // Ci += Ar*Bi


/* iter 6 (reset local read pointers iteration)  (swap local read pointers iteration)  */

/*  grEndMfmaIndex:4, lwStartMfmaIndex:24, lwEndMfmaIndex:120  */
/*  numMfmaForLR:5, barrierMfmaIndex:122, LocalWritePerMfma:0.115 */
/*  mfmaIndex:96  */
v_add_f32 v151, -v[vgprValuA_X6_I0+0+0+0+1], 0     // Ai=-Ai
v_mfma_f32_16x16x4_f32 v[0+0:3+0], v[vgprValuB_X6_I0+0+0+0], v[vgprValuA_X6_I0+0+0+0], v[0:3]
 // Cr += Ar*Br
/*  mfmaIndex:97  */
v_mfma_f32_16x16x4_f32 v[16+0:19+0], v[vgprValuB_X6_I0+0+0+0], v[vgprValuA_X6_I0+0+0+0+1], v[16:19]
 // Ci += Ai*Br
/*  mfmaIndex:98  */
v_mfma_f32_16x16x4_f32 v[0+0:3+0], v[vgprValuB_X6_I0+0+0+0+1], v151, v[0:3]
 // Cr += -Ai*Bi
/*  mfmaIndex:99  */
v_mfma_f32_16x16x4_f32 v[16+0:19+0], v[vgprValuB_X6_I0+0+0+0+1], v[vgprValuA_X6_I0+0+0+0], v[16:19]
 // Ci += Ar*Bi
/*  mfmaIndex:100  */
v_mfma_f32_16x16x4_f32 v[4+0:7+0], v[vgprValuB_X6_I0+2+0+0], v[vgprValuA_X6_I0+0+0+0], v[4:7]
 // Cr += Ar*Br
/*  mfmaIndex:101  */
v_mfma_f32_16x16x4_f32 v[20+0:23+0], v[vgprValuB_X6_I0+2+0+0], v[vgprValuA_X6_I0+0+0+0+1], v[20:23]
 // Ci += Ai*Br
/*  mfmaIndex:102  */
/* sched write - iter 6 writesPerItem=1 */
s_waitcnt vmcnt(0)                                 // lgkmcnt=-1 vmcnt=0wait for global read before writing to local
_ds_store_b64 v[vgprLocalWriteAddrB], v[vgprG2LB+10:vgprG2LB+10+1] offset:10560 // lwoB_0_0_5_0 = (0*LSCB)*(MT1J+PAD) + (5*LSPB) = 10560
v_mfma_f32_16x16x4_f32 v[4+0:7+0], v[vgprValuB_X6_I0+2+0+0+1], v151, v[4:7]
 // Cr += -Ai*Bi
/*  mfmaIndex:103  */
v_mfma_f32_16x16x4_f32 v[20+0:23+0], v[vgprValuB_X6_I0+2+0+0+1], v[vgprValuA_X6_I0+0+0+0], v[20:23]
 // Ci += Ar*Bi
/*  mfmaIndex:104  */
v_mfma_f32_16x16x4_f32 v[8+0:11+0], v[vgprValuB_X6_I0+4+0+0], v[vgprValuA_X6_I0+0+0+0], v[8:11]
 // Cr += Ar*Br
/*  mfmaIndex:105  */
v_mfma_f32_16x16x4_f32 v[24+0:27+0], v[vgprValuB_X6_I0+4+0+0], v[vgprValuA_X6_I0+0+0+0+1], v[24:27]
 // Ci += Ai*Br
/*  mfmaIndex:106  */
v_mfma_f32_16x16x4_f32 v[8+0:11+0], v[vgprValuB_X6_I0+4+0+0+1], v151, v[8:11]
 // Cr += -Ai*Bi
/*  mfmaIndex:107  */
v_mfma_f32_16x16x4_f32 v[24+0:27+0], v[vgprValuB_X6_I0+4+0+0+1], v[vgprValuA_X6_I0+0+0+0], v[24:27]
 // Ci += Ar*Bi
/*  mfmaIndex:108  */
v_mfma_f32_16x16x4_f32 v[12+0:15+0], v[vgprValuB_X6_I0+6+0+0], v[vgprValuA_X6_I0+0+0+0], v[12:15]
 // Cr += Ar*Br
/*  mfmaIndex:109  */
v_mfma_f32_16x16x4_f32 v[28+0:31+0], v[vgprValuB_X6_I0+6+0+0], v[vgprValuA_X6_I0+0+0+0+1], v[28:31]
 // Ci += Ai*Br
/*  mfmaIndex:110  */
/* sched write - iter 6 writesPerItem=1 */
s_waitcnt vmcnt(0)                                 // lgkmcnt=-1 vmcnt=0wait for global read before writing to local
_ds_store_b64 v[vgprLocalWriteAddrB], v[vgprG2LB+12:vgprG2LB+12+1] offset:12672 // lwoB_0_0_6_0 = (0*LSCB)*(MT1J+PAD) + (6*LSPB) = 12672
v_mfma_f32_16x16x4_f32 v[12+0:15+0], v[vgprValuB_X6_I0+6+0+0+1], v151, v[12:15]
 // Cr += -Ai*Bi
/*  mfmaIndex:111  */

/* local read swap offsets a */

/* local read swap offsets b */

/* local read init pointers a */

/* localReadInitPointers */

/* local read init pointers b */

/* localReadInitPointers */
v_mfma_f32_16x16x4_f32 v[28+0:31+0], v[vgprValuB_X6_I0+6+0+0+1], v[vgprValuA_X6_I0+0+0+0], v[28:31]
 // Ci += Ar*Bi


/* iter 7 (swap and reset local write pointers iteration)  */

/*  grEndMfmaIndex:4, lwStartMfmaIndex:24, lwEndMfmaIndex:120  */
/*  numMfmaForLR:5, barrierMfmaIndex:122, LocalWritePerMfma:0.115 */
/*  mfmaIndex:112  */
v_add_f32 v151, -v[vgprValuA_X7_I0+0+0+0+1], 0     // Ai=-Ai
v_mfma_f32_16x16x4_f32 v[0+0:3+0], v[vgprValuB_X7_I0+0+0+0], v[vgprValuA_X7_I0+0+0+0], v[0:3]
 // Cr += Ar*Br
/*  mfmaIndex:113  */
v_mfma_f32_16x16x4_f32 v[16+0:19+0], v[vgprValuB_X7_I0+0+0+0], v[vgprValuA_X7_I0+0+0+0+1], v[16:19]
 // Ci += Ai*Br
/*  mfmaIndex:114  */
v_mfma_f32_16x16x4_f32 v[0+0:3+0], v[vgprValuB_X7_I0+0+0+0+1], v151, v[0:3]
 // Cr += -Ai*Bi
/*  mfmaIndex:115  */
v_mfma_f32_16x16x4_f32 v[16+0:19+0], v[vgprValuB_X7_I0+0+0+0+1], v[vgprValuA_X7_I0+0+0+0], v[16:19]
 // Ci += Ar*Bi
/*  mfmaIndex:116  */
v_mfma_f32_16x16x4_f32 v[4+0:7+0], v[vgprValuB_X7_I0+2+0+0], v[vgprValuA_X7_I0+0+0+0], v[4:7]
 // Cr += Ar*Br
/*  mfmaIndex:117  */
v_mfma_f32_16x16x4_f32 v[20+0:23+0], v[vgprValuB_X7_I0+2+0+0], v[vgprValuA_X7_I0+0+0+0+1], v[20:23]
 // Ci += Ai*Br
/*  mfmaIndex:118  */
v_mfma_f32_16x16x4_f32 v[4+0:7+0], v[vgprValuB_X7_I0+2+0+0+1], v151, v[4:7]
 // Cr += -Ai*Bi
/*  mfmaIndex:119  */
/* sched write - iter 7 writesPerItem=1 */
s_waitcnt vmcnt(0)                                 // lgkmcnt=-1 vmcnt=0wait for global read before writing to local
_ds_store_b64 v[vgprLocalWriteAddrB], v[vgprG2LB+14:vgprG2LB+14+1] offset:14784 // lwoB_0_0_7_0 = (0*LSCB)*(MT1J+PAD) + (7*LSPB) = 14784
v_mfma_f32_16x16x4_f32 v[20+0:23+0], v[vgprValuB_X7_I0+2+0+0+1], v[vgprValuA_X7_I0+0+0+0], v[20:23]
 // Ci += Ar*Bi
/*  mfmaIndex:120  */

/* local write swap offsets a */

/* local write swap offsets b */
v_mfma_f32_16x16x4_f32 v[8+0:11+0], v[vgprValuB_X7_I0+4+0+0], v[vgprValuA_X7_I0+0+0+0], v[8:11]
 // Cr += Ar*Br
/*  mfmaIndex:121  */
v_mfma_f32_16x16x4_f32 v[24+0:27+0], v[vgprValuB_X7_I0+4+0+0], v[vgprValuA_X7_I0+0+0+0+1], v[24:27]
 // Ci += Ai*Br
/*  mfmaIndex:122  */
s_waitcnt lgkmcnt(0)                               // lgkmcnt=0 vmcnt=-13wait for local write
// Skip force waitcnt0
s_barrier //
v_mfma_f32_16x16x4_f32 v[8+0:11+0], v[vgprValuB_X7_I0+4+0+0+1], v151, v[8:11]
 // Cr += -Ai*Bi
/*  mfmaIndex:123  */
_ds_load_b64 v[vgprValuA_X0_I0+0:vgprValuA_X0_I0+0+1], v[vgprLocalReadAddrA] offset:0 // L -> Reg lro=0 swapByteOffset=0 ti=64 vIdx=0 rIdx=0 oIdx=0 buffer=0 iui=0
_ds_load_b64 v[vgprValuB_X0_I0+0:vgprValuB_X0_I0+0+1], v[vgprLocalReadAddrB] offset:0 // L -> Reg lro=0 swapByteOffset=0 ti=16 vIdx=0 rIdx=0 oIdx=0 buffer=0 iui=0
v_mfma_f32_16x16x4_f32 v[24+0:27+0], v[vgprValuB_X7_I0+4+0+0+1], v[vgprValuA_X7_I0+0+0+0], v[24:27]
 // Ci += Ar*Bi
/*  mfmaIndex:124  */
_ds_load_b64 v[vgprValuB_X0_I0+2:vgprValuB_X0_I0+2+1], v[vgprLocalReadAddrB] offset:4224 // L -> Reg lro=0 swapByteOffset=0 ti=16 vIdx=1 rIdx=0 oIdx=0 buffer=0 iui=0
_ds_load_b64 v[vgprValuB_X0_I0+4:vgprValuB_X0_I0+4+1], v[vgprLocalReadAddrB] offset:8448 // L -> Reg lro=0 swapByteOffset=0 ti=16 vIdx=2 rIdx=0 oIdx=0 buffer=0 iui=0
v_mfma_f32_16x16x4_f32 v[12+0:15+0], v[vgprValuB_X7_I0+6+0+0], v[vgprValuA_X7_I0+0+0+0], v[12:15]
 // Cr += Ar*Br
/*  mfmaIndex:125  */
_ds_load_b64 v[vgprValuB_X0_I0+6:vgprValuB_X0_I0+6+1], v[vgprLocalReadAddrB] offset:12672 // L -> Reg lro=0 swapByteOffset=0 ti=16 vIdx=3 rIdx=0 oIdx=0 buffer=0 iui=0
v_mfma_f32_16x16x4_f32 v[28+0:31+0], v[vgprValuB_X7_I0+6+0+0], v[vgprValuA_X7_I0+0+0+0+1], v[28:31]
 // Ci += Ai*Br
/*  mfmaIndex:126  */
v_mfma_f32_16x16x4_f32 v[12+0:15+0], v[vgprValuB_X7_I0+6+0+0+1], v151, v[12:15]
 // Cr += -Ai*Bi
/*  mfmaIndex:127  */
v_mfma_f32_16x16x4_f32 v[28+0:31+0], v[vgprValuB_X7_I0+6+0+0+1], v[vgprValuA_X7_I0+0+0+0], v[28:31]
 // Ci += Ar*Bi

label_0014:


/******************************************/
/* Opt. NoLoadLoop Without PAP - Begin                                      */
/******************************************/

s_mov_b32 s64, s[sgprBeta+0]                       // tmp = Beta[0]
s_or_b32 s64, s[sgprBeta+1], s64                   // tmp |= Beta[1] 
s_cmpk_eq_u32 s64, 0x0                             // Beta == 0
s_cbranch_scc0 OptNLL_End_17                       // Branch if Beta is not zero

s_mov_b32 s64, 1.0                                 // Real part of 1.0
s_mov_b32 s65, 0.0                                 // Imaginary part of 1.0
s_cmp_eq_u64 s[sgprAlpha:sgprAlpha+1], s[64:65]    // Alpha == 1.0 ?
s_cbranch_scc0 OptNLL_End_17                       // branch if alpha != 1

s_and_b32 s64, 63, s[sgprSizeI]                    // s64 = s[sgprSizeI] % 64
s_add_u32 s65, -0x1, s[sgprNumWorkGroups0]         // 
s_cmp_ge_u32 s[sgprWorkGroup0], s65                // wg0 >= nwg0-1 ?
s_cselect_b32 s64, s64, 0                          // set rMT0
s_cmpk_gt_u32 s64, 0x0                             // rMT0 > 0
s_cbranch_scc1 OptNLL_End_17                       // jump if edges required
s_and_b32 s64, 63, s[sgprSizeJ]                    // s64 = s[sgprSizeJ] % 64
s_add_u32 s65, -0x1, s[sgprNumWorkGroups1]         // 
s_cmp_ge_u32 s[sgprWorkGroup1], s65                // wg1 >= nwg1-1
s_cselect_b32 s64, s64, 0                          // set rMT1
s_cmpk_gt_u32 s64, 0x0                             // rMT1 > 0
s_cbranch_scc1 OptNLL_End_17                       // jump if edges required

s_and_b32 s65, 31, s[sgprSizesSum+0]               // s65 = s[sgprSizesSum+0] % 32
s_cmp_eq_u32 s65, 0x0                              // numIterL == 0
s_cbranch_scc0 OptNLL_End_17                       // skip if tail loop required


	;; [unrolled: 1-line block ×3, first 2 shown]
/* iter 0 (last unrolled loop) */

/*  grEndMfmaIndex:0, lwStartMfmaIndex:120, lwEndMfmaIndex:120  */
/*  numMfmaForLR:5, barrierMfmaIndex:122, LocalWritePerMfma:0.115 */
/*  mfmaIndex:0  */
s_waitcnt lgkmcnt(0)                               // lgkmcnt=0 vmcnt=-1wait for prior local read local write old=0, new=0 newLW=0 newLR=0
v_add_f32 v151, -v[vgprValuA_X0_I0+0+0+0+1], 0     // Ai=-Ai
v_mfma_f32_16x16x4_f32 v[0+0:3+0], v[vgprValuB_X0_I0+0+0+0], v[vgprValuA_X0_I0+0+0+0], v[0:3]
 // Cr += Ar*Br
/*  mfmaIndex:1  */
_ds_load_b64 v[vgprValuA_X1_I0+0:vgprValuA_X1_I0+0+1], v[vgprLocalReadAddrA] offset:2048 // L -> Reg lro=256 swapByteOffset=0 ti=64 vIdx=0 rIdx=0 oIdx=0 buffer=1 iui=0
_ds_load_b64 v[vgprValuB_X1_I0+0:vgprValuB_X1_I0+0+1], v[vgprLocalReadAddrB] offset:32 // L -> Reg lro=4 swapByteOffset=0 ti=16 vIdx=0 rIdx=0 oIdx=0 buffer=1 iui=0
v_mfma_f32_16x16x4_f32 v[16+0:19+0], v[vgprValuB_X0_I0+0+0+0], v[vgprValuA_X0_I0+0+0+0+1], v[16:19]
 // Ci += Ai*Br
/*  mfmaIndex:2  */
_ds_load_b64 v[vgprValuB_X1_I0+2:vgprValuB_X1_I0+2+1], v[vgprLocalReadAddrB] offset:4256 // L -> Reg lro=4 swapByteOffset=0 ti=16 vIdx=1 rIdx=0 oIdx=0 buffer=1 iui=0
_ds_load_b64 v[vgprValuB_X1_I0+4:vgprValuB_X1_I0+4+1], v[vgprLocalReadAddrB] offset:8480 // L -> Reg lro=4 swapByteOffset=0 ti=16 vIdx=2 rIdx=0 oIdx=0 buffer=1 iui=0
v_mfma_f32_16x16x4_f32 v[0+0:3+0], v[vgprValuB_X0_I0+0+0+0+1], v151, v[0:3]
 // Cr += -Ai*Bi
/*  mfmaIndex:3  */
_ds_load_b64 v[vgprValuB_X1_I0+6:vgprValuB_X1_I0+6+1], v[vgprLocalReadAddrB] offset:12704 // L -> Reg lro=4 swapByteOffset=0 ti=16 vIdx=3 rIdx=0 oIdx=0 buffer=1 iui=0
/* localReadsVacancy: latencyLeft 3 */
_ds_load_b64 v[vgprValuA_X2_I0+0:vgprValuA_X2_I0+0+1], v[vgprLocalReadAddrA] offset:4096 // L -> Reg lro=512 swapByteOffset=0 ti=64 vIdx=0 rIdx=0 oIdx=0 buffer=2 iui=0
v_mfma_f32_16x16x4_f32 v[16+0:19+0], v[vgprValuB_X0_I0+0+0+0+1], v[vgprValuA_X0_I0+0+0+0], v[16:19]
 // Ci += Ar*Bi
/*  mfmaIndex:4  */
/* localReadsVacancy: latencyLeft 5 */
_ds_load_b64 v[vgprValuB_X2_I0+0:vgprValuB_X2_I0+0+1], v[vgprLocalReadAddrB] offset:64 // L -> Reg lro=8 swapByteOffset=0 ti=16 vIdx=0 rIdx=0 oIdx=0 buffer=2 iui=0
_ds_load_b64 v[vgprValuB_X2_I0+2:vgprValuB_X2_I0+2+1], v[vgprLocalReadAddrB] offset:4288 // L -> Reg lro=8 swapByteOffset=0 ti=16 vIdx=1 rIdx=0 oIdx=0 buffer=2 iui=0
v_mfma_f32_16x16x4_f32 v[4+0:7+0], v[vgprValuB_X0_I0+2+0+0], v[vgprValuA_X0_I0+0+0+0], v[4:7]
 // Cr += Ar*Br
/*  mfmaIndex:5  */
/* localReadsVacancy: latencyLeft 5 */
_ds_load_b64 v[vgprValuB_X2_I0+4:vgprValuB_X2_I0+4+1], v[vgprLocalReadAddrB] offset:8512 // L -> Reg lro=8 swapByteOffset=0 ti=16 vIdx=2 rIdx=0 oIdx=0 buffer=2 iui=0
_ds_load_b64 v[vgprValuB_X2_I0+6:vgprValuB_X2_I0+6+1], v[vgprLocalReadAddrB] offset:12736 // L -> Reg lro=8 swapByteOffset=0 ti=16 vIdx=3 rIdx=0 oIdx=0 buffer=2 iui=0
v_mfma_f32_16x16x4_f32 v[20+0:23+0], v[vgprValuB_X0_I0+2+0+0], v[vgprValuA_X0_I0+0+0+0+1], v[20:23]
 // Ci += Ai*Br
/*  mfmaIndex:6  */
/* localReadsVacancy: latencyLeft 5 */
_ds_load_b64 v[vgprValuA_X3_I0+0:vgprValuA_X3_I0+0+1], v[vgprLocalReadAddrA] offset:6144 // L -> Reg lro=768 swapByteOffset=0 ti=64 vIdx=0 rIdx=0 oIdx=0 buffer=3 iui=0
_ds_load_b64 v[vgprValuB_X3_I0+0:vgprValuB_X3_I0+0+1], v[vgprLocalReadAddrB] offset:96 // L -> Reg lro=12 swapByteOffset=0 ti=16 vIdx=0 rIdx=0 oIdx=0 buffer=3 iui=0
v_mfma_f32_16x16x4_f32 v[4+0:7+0], v[vgprValuB_X0_I0+2+0+0+1], v151, v[4:7]
 // Cr += -Ai*Bi
/*  mfmaIndex:7  */
/* localReadsVacancy: latencyLeft 5 */
_ds_load_b64 v[vgprValuB_X3_I0+2:vgprValuB_X3_I0+2+1], v[vgprLocalReadAddrB] offset:4320 // L -> Reg lro=12 swapByteOffset=0 ti=16 vIdx=1 rIdx=0 oIdx=0 buffer=3 iui=0
_ds_load_b64 v[vgprValuB_X3_I0+4:vgprValuB_X3_I0+4+1], v[vgprLocalReadAddrB] offset:8544 // L -> Reg lro=12 swapByteOffset=0 ti=16 vIdx=2 rIdx=0 oIdx=0 buffer=3 iui=0
v_mfma_f32_16x16x4_f32 v[20+0:23+0], v[vgprValuB_X0_I0+2+0+0+1], v[vgprValuA_X0_I0+0+0+0], v[20:23]
 // Ci += Ar*Bi
/*  mfmaIndex:8  */
/* localReadsVacancy: latencyLeft 5 */
_ds_load_b64 v[vgprValuB_X3_I0+6:vgprValuB_X3_I0+6+1], v[vgprLocalReadAddrB] offset:12768 // L -> Reg lro=12 swapByteOffset=0 ti=16 vIdx=3 rIdx=0 oIdx=0 buffer=3 iui=0
_ds_load_b64 v[vgprValuA_X4_I0+0:vgprValuA_X4_I0+0+1], v[vgprLocalReadAddrA] offset:8192 // L -> Reg lro=1024 swapByteOffset=0 ti=64 vIdx=0 rIdx=0 oIdx=0 buffer=4 iui=0
v_mfma_f32_16x16x4_f32 v[8+0:11+0], v[vgprValuB_X0_I0+4+0+0], v[vgprValuA_X0_I0+0+0+0], v[8:11]
 // Cr += Ar*Br
/*  mfmaIndex:9  */
/* localReadsVacancy: latencyLeft 5 */
_ds_load_b64 v[vgprValuB_X4_I0+0:vgprValuB_X4_I0+0+1], v[vgprLocalReadAddrB] offset:128 // L -> Reg lro=16 swapByteOffset=0 ti=16 vIdx=0 rIdx=0 oIdx=0 buffer=4 iui=0
_ds_load_b64 v[vgprValuB_X4_I0+2:vgprValuB_X4_I0+2+1], v[vgprLocalReadAddrB] offset:4352 // L -> Reg lro=16 swapByteOffset=0 ti=16 vIdx=1 rIdx=0 oIdx=0 buffer=4 iui=0
v_mfma_f32_16x16x4_f32 v[24+0:27+0], v[vgprValuB_X0_I0+4+0+0], v[vgprValuA_X0_I0+0+0+0+1], v[24:27]
 // Ci += Ai*Br
/*  mfmaIndex:10  */
/* localReadsVacancy: latencyLeft 5 */
_ds_load_b64 v[vgprValuB_X4_I0+4:vgprValuB_X4_I0+4+1], v[vgprLocalReadAddrB] offset:8576 // L -> Reg lro=16 swapByteOffset=0 ti=16 vIdx=2 rIdx=0 oIdx=0 buffer=4 iui=0
_ds_load_b64 v[vgprValuB_X4_I0+6:vgprValuB_X4_I0+6+1], v[vgprLocalReadAddrB] offset:12800 // L -> Reg lro=16 swapByteOffset=0 ti=16 vIdx=3 rIdx=0 oIdx=0 buffer=4 iui=0
v_mfma_f32_16x16x4_f32 v[8+0:11+0], v[vgprValuB_X0_I0+4+0+0+1], v151, v[8:11]
 // Cr += -Ai*Bi
/*  mfmaIndex:11  */
/* localReadsVacancy: latencyLeft 5 */
_ds_load_b64 v[vgprValuA_X5_I0+0:vgprValuA_X5_I0+0+1], v[vgprLocalReadAddrA] offset:10240 // L -> Reg lro=1280 swapByteOffset=0 ti=64 vIdx=0 rIdx=0 oIdx=0 buffer=5 iui=0
_ds_load_b64 v[vgprValuB_X5_I0+0:vgprValuB_X5_I0+0+1], v[vgprLocalReadAddrB] offset:160 // L -> Reg lro=20 swapByteOffset=0 ti=16 vIdx=0 rIdx=0 oIdx=0 buffer=5 iui=0
v_mfma_f32_16x16x4_f32 v[24+0:27+0], v[vgprValuB_X0_I0+4+0+0+1], v[vgprValuA_X0_I0+0+0+0], v[24:27]
 // Ci += Ar*Bi
/*  mfmaIndex:12  */
/* localReadsVacancy: latencyLeft 5 */
_ds_load_b64 v[vgprValuB_X5_I0+2:vgprValuB_X5_I0+2+1], v[vgprLocalReadAddrB] offset:4384 // L -> Reg lro=20 swapByteOffset=0 ti=16 vIdx=1 rIdx=0 oIdx=0 buffer=5 iui=0
_ds_load_b64 v[vgprValuB_X5_I0+4:vgprValuB_X5_I0+4+1], v[vgprLocalReadAddrB] offset:8608 // L -> Reg lro=20 swapByteOffset=0 ti=16 vIdx=2 rIdx=0 oIdx=0 buffer=5 iui=0
v_mfma_f32_16x16x4_f32 v[12+0:15+0], v[vgprValuB_X0_I0+6+0+0], v[vgprValuA_X0_I0+0+0+0], v[12:15]
 // Cr += Ar*Br
/*  mfmaIndex:13  */
/* localReadsVacancy: latencyLeft 5 */
_ds_load_b64 v[vgprValuB_X5_I0+6:vgprValuB_X5_I0+6+1], v[vgprLocalReadAddrB] offset:12832 // L -> Reg lro=20 swapByteOffset=0 ti=16 vIdx=3 rIdx=0 oIdx=0 buffer=5 iui=0
_ds_load_b64 v[vgprValuA_X6_I0+0:vgprValuA_X6_I0+0+1], v[vgprLocalReadAddrA] offset:12288 // L -> Reg lro=1536 swapByteOffset=0 ti=64 vIdx=0 rIdx=0 oIdx=0 buffer=6 iui=0
v_mfma_f32_16x16x4_f32 v[28+0:31+0], v[vgprValuB_X0_I0+6+0+0], v[vgprValuA_X0_I0+0+0+0+1], v[28:31]
 // Ci += Ai*Br
/*  mfmaIndex:14  */
/* localReadsVacancy: latencyLeft 5 */
_ds_load_b64 v[vgprValuB_X6_I0+0:vgprValuB_X6_I0+0+1], v[vgprLocalReadAddrB] offset:192 // L -> Reg lro=24 swapByteOffset=0 ti=16 vIdx=0 rIdx=0 oIdx=0 buffer=6 iui=0
_ds_load_b64 v[vgprValuB_X6_I0+2:vgprValuB_X6_I0+2+1], v[vgprLocalReadAddrB] offset:4416 // L -> Reg lro=24 swapByteOffset=0 ti=16 vIdx=1 rIdx=0 oIdx=0 buffer=6 iui=0
v_mfma_f32_16x16x4_f32 v[12+0:15+0], v[vgprValuB_X0_I0+6+0+0+1], v151, v[12:15]
 // Cr += -Ai*Bi
/*  mfmaIndex:15  */
/* localReadsVacancy: latencyLeft 5 */
_ds_load_b64 v[vgprValuB_X6_I0+4:vgprValuB_X6_I0+4+1], v[vgprLocalReadAddrB] offset:8640 // L -> Reg lro=24 swapByteOffset=0 ti=16 vIdx=2 rIdx=0 oIdx=0 buffer=6 iui=0
_ds_load_b64 v[vgprValuB_X6_I0+6:vgprValuB_X6_I0+6+1], v[vgprLocalReadAddrB] offset:12864 // L -> Reg lro=24 swapByteOffset=0 ti=16 vIdx=3 rIdx=0 oIdx=0 buffer=6 iui=0
v_mfma_f32_16x16x4_f32 v[28+0:31+0], v[vgprValuB_X0_I0+6+0+0+1], v[vgprValuA_X0_I0+0+0+0], v[28:31]
 // Ci += Ar*Bi
/* numPrefetchIter=0 */
/* dataAtIterA=-1 numReadsIterA=1 skipReadsIterA=1 readsPerIterA=1 */
/* dataAtIterB=-1 numReadsIterB=1 skipReadsIterB=1 readsPerIterB=4 */


/* iter 1 (last unrolled loop) */

/*  grEndMfmaIndex:0, lwStartMfmaIndex:120, lwEndMfmaIndex:120  */
/*  numMfmaForLR:5, barrierMfmaIndex:122, LocalWritePerMfma:0.115 */
/*  mfmaIndex:16  */
/* localReadsVacancy: latencyLeft 5 */
_ds_load_b64 v[vgprValuA_X7_I0+0:vgprValuA_X7_I0+0+1], v[vgprLocalReadAddrA] offset:14336 // L -> Reg lro=1792 swapByteOffset=0 ti=64 vIdx=0 rIdx=0 oIdx=0 buffer=7 iui=0
_ds_load_b64 v[vgprValuB_X7_I0+0:vgprValuB_X7_I0+0+1], v[vgprLocalReadAddrB] offset:224 // L -> Reg lro=28 swapByteOffset=0 ti=16 vIdx=0 rIdx=0 oIdx=0 buffer=7 iui=0
s_waitcnt lgkmcnt(15)                              // lgkmcnt=0 vmcnt=-1wait for prior local read local write old=5, new=5 newLW=0 newLR=0
v_add_f32 v151, -v[vgprValuA_X1_I0+0+0+0+1], 0     // Ai=-Ai
v_mfma_f32_16x16x4_f32 v[0+0:3+0], v[vgprValuB_X1_I0+0+0+0], v[vgprValuA_X1_I0+0+0+0], v[0:3]
 // Cr += Ar*Br
/*  mfmaIndex:17  */
/* localReadsVacancy: latencyLeft 5 */
_ds_load_b64 v[vgprValuB_X7_I0+2:vgprValuB_X7_I0+2+1], v[vgprLocalReadAddrB] offset:4448 // L -> Reg lro=28 swapByteOffset=0 ti=16 vIdx=1 rIdx=0 oIdx=0 buffer=7 iui=0
_ds_load_b64 v[vgprValuB_X7_I0+4:vgprValuB_X7_I0+4+1], v[vgprLocalReadAddrB] offset:8672 // L -> Reg lro=28 swapByteOffset=0 ti=16 vIdx=2 rIdx=0 oIdx=0 buffer=7 iui=0
v_mfma_f32_16x16x4_f32 v[16+0:19+0], v[vgprValuB_X1_I0+0+0+0], v[vgprValuA_X1_I0+0+0+0+1], v[16:19]
 // Ci += Ai*Br
/*  mfmaIndex:18  */
/* localReadsVacancy: latencyLeft 5 */
_ds_load_b64 v[vgprValuB_X7_I0+6:vgprValuB_X7_I0+6+1], v[vgprLocalReadAddrB] offset:12896 // L -> Reg lro=28 swapByteOffset=0 ti=16 vIdx=3 rIdx=0 oIdx=0 buffer=7 iui=0
v_mfma_f32_16x16x4_f32 v[0+0:3+0], v[vgprValuB_X1_I0+0+0+0+1], v151, v[0:3]
 // Cr += -Ai*Bi
/*  mfmaIndex:19  */
/* localReadsVacancy: latencyLeft 5 */
v_mfma_f32_16x16x4_f32 v[16+0:19+0], v[vgprValuB_X1_I0+0+0+0+1], v[vgprValuA_X1_I0+0+0+0], v[16:19]
 // Ci += Ar*Bi
/*  mfmaIndex:20  */
/* localReadsVacancy: latencyLeft 5 */
v_mfma_f32_16x16x4_f32 v[4+0:7+0], v[vgprValuB_X1_I0+2+0+0], v[vgprValuA_X1_I0+0+0+0], v[4:7]
 // Cr += Ar*Br
/*  mfmaIndex:21  */
/* localReadsVacancy: latencyLeft 5 */
v_mfma_f32_16x16x4_f32 v[20+0:23+0], v[vgprValuB_X1_I0+2+0+0], v[vgprValuA_X1_I0+0+0+0+1], v[20:23]
 // Ci += Ai*Br
/*  mfmaIndex:22  */
/* localReadsVacancy: latencyLeft 5 */
v_mfma_f32_16x16x4_f32 v[4+0:7+0], v[vgprValuB_X1_I0+2+0+0+1], v151, v[4:7]
 // Cr += -Ai*Bi
/*  mfmaIndex:23  */
/* localReadsVacancy: latencyLeft 5 */
v_mfma_f32_16x16x4_f32 v[20+0:23+0], v[vgprValuB_X1_I0+2+0+0+1], v[vgprValuA_X1_I0+0+0+0], v[20:23]
 // Ci += Ar*Bi
/*  mfmaIndex:24  */
/* localReadsVacancy: latencyLeft 5 */
v_mfma_f32_16x16x4_f32 v[8+0:11+0], v[vgprValuB_X1_I0+4+0+0], v[vgprValuA_X1_I0+0+0+0], v[8:11]
 // Cr += Ar*Br
/*  mfmaIndex:25  */
/* localReadsVacancy: latencyLeft 5 */
v_mfma_f32_16x16x4_f32 v[24+0:27+0], v[vgprValuB_X1_I0+4+0+0], v[vgprValuA_X1_I0+0+0+0+1], v[24:27]
 // Ci += Ai*Br
/*  mfmaIndex:26  */
/* localReadsVacancy: latencyLeft 5 */
	;; [unrolled: 16-line block ×3, first 2 shown]
v_mfma_f32_16x16x4_f32 v[12+0:15+0], v[vgprValuB_X1_I0+6+0+0+1], v151, v[12:15]
 // Cr += -Ai*Bi
/*  mfmaIndex:31  */
/* localReadsVacancy: latencyLeft 5 */
v_mfma_f32_16x16x4_f32 v[28+0:31+0], v[vgprValuB_X1_I0+6+0+0+1], v[vgprValuA_X1_I0+0+0+0], v[28:31]
 // Ci += Ar*Bi
/* numPrefetchIter=0 */
/* dataAtIterA=0 numReadsIterA=2 skipReadsIterA=1 readsPerIterA=1 */
/* dataAtIterB=0 numReadsIterB=2 skipReadsIterB=1 readsPerIterB=4 */


/* iter 2 (last unrolled loop) */

/*  grEndMfmaIndex:0, lwStartMfmaIndex:120, lwEndMfmaIndex:120  */
/*  numMfmaForLR:5, barrierMfmaIndex:122, LocalWritePerMfma:0.115 */
/*  mfmaIndex:32  */
/* localReadsVacancy: latencyLeft 5 */
s_waitcnt lgkmcnt(5)                               // lgkmcnt=0 vmcnt=-1wait for prior local read local write old=0, new=0 newLW=0 newLR=0
v_add_f32 v151, -v[vgprValuA_X2_I0+0+0+0+1], 0     // Ai=-Ai
v_mfma_f32_16x16x4_f32 v[0+0:3+0], v[vgprValuB_X2_I0+0+0+0], v[vgprValuA_X2_I0+0+0+0], v[0:3]
 // Cr += Ar*Br
/*  mfmaIndex:33  */
/* localReadsVacancy: latencyLeft 5 */
v_mfma_f32_16x16x4_f32 v[16+0:19+0], v[vgprValuB_X2_I0+0+0+0], v[vgprValuA_X2_I0+0+0+0+1], v[16:19]
 // Ci += Ai*Br
/*  mfmaIndex:34  */
/* localReadsVacancy: latencyLeft 5 */
v_mfma_f32_16x16x4_f32 v[0+0:3+0], v[vgprValuB_X2_I0+0+0+0+1], v151, v[0:3]
 // Cr += -Ai*Bi
/*  mfmaIndex:35  */
/* localReadsVacancy: latencyLeft 5 */
v_mfma_f32_16x16x4_f32 v[16+0:19+0], v[vgprValuB_X2_I0+0+0+0+1], v[vgprValuA_X2_I0+0+0+0], v[16:19]
 // Ci += Ar*Bi
/*  mfmaIndex:36  */
/* localReadsVacancy: latencyLeft 5 */
v_mfma_f32_16x16x4_f32 v[4+0:7+0], v[vgprValuB_X2_I0+2+0+0], v[vgprValuA_X2_I0+0+0+0], v[4:7]
 // Cr += Ar*Br
/*  mfmaIndex:37  */
/* localReadsVacancy: latencyLeft 5 */
v_mfma_f32_16x16x4_f32 v[20+0:23+0], v[vgprValuB_X2_I0+2+0+0], v[vgprValuA_X2_I0+0+0+0+1], v[20:23]
 // Ci += Ai*Br
/*  mfmaIndex:38  */
/* localReadsVacancy: latencyLeft 5 */
v_mfma_f32_16x16x4_f32 v[4+0:7+0], v[vgprValuB_X2_I0+2+0+0+1], v151, v[4:7]
 // Cr += -Ai*Bi
/*  mfmaIndex:39  */
/* localReadsVacancy: latencyLeft 5 */
v_mfma_f32_16x16x4_f32 v[20+0:23+0], v[vgprValuB_X2_I0+2+0+0+1], v[vgprValuA_X2_I0+0+0+0], v[20:23]
 // Ci += Ar*Bi
/*  mfmaIndex:40  */
/* localReadsVacancy: latencyLeft 5 */
	;; [unrolled: 16-line block ×3, first 2 shown]
v_mfma_f32_16x16x4_f32 v[12+0:15+0], v[vgprValuB_X2_I0+6+0+0], v[vgprValuA_X2_I0+0+0+0], v[12:15]
 // Cr += Ar*Br
/*  mfmaIndex:45  */
/* localReadsVacancy: latencyLeft 5 */
v_mfma_f32_16x16x4_f32 v[28+0:31+0], v[vgprValuB_X2_I0+6+0+0], v[vgprValuA_X2_I0+0+0+0+1], v[28:31]
 // Ci += Ai*Br
/*  mfmaIndex:46  */
/* localReadsVacancy: latencyLeft 5 */
v_mfma_f32_16x16x4_f32 v[12+0:15+0], v[vgprValuB_X2_I0+6+0+0+1], v151, v[12:15]
 // Cr += -Ai*Bi
/*  mfmaIndex:47  */
/* localReadsVacancy: latencyLeft 5 */
v_mfma_f32_16x16x4_f32 v[28+0:31+0], v[vgprValuB_X2_I0+6+0+0+1], v[vgprValuA_X2_I0+0+0+0], v[28:31]
 // Ci += Ar*Bi
/* numPrefetchIter=0 */
/* dataAtIterA=1 numReadsIterA=3 skipReadsIterA=1 readsPerIterA=1 */
/* dataAtIterB=1 numReadsIterB=3 skipReadsIterB=1 readsPerIterB=4 */


/* iter 3 (last unrolled loop) */

/*  grEndMfmaIndex:0, lwStartMfmaIndex:120, lwEndMfmaIndex:120  */
/*  numMfmaForLR:5, barrierMfmaIndex:122, LocalWritePerMfma:0.115 */
/*  mfmaIndex:48  */
/* localReadsVacancy: latencyLeft 5 */
s_waitcnt lgkmcnt(5)                               // lgkmcnt=0 vmcnt=-1wait for prior local read local write old=0, new=0 newLW=0 newLR=0
v_add_f32 v151, -v[vgprValuA_X3_I0+0+0+0+1], 0     // Ai=-Ai
v_mfma_f32_16x16x4_f32 v[0+0:3+0], v[vgprValuB_X3_I0+0+0+0], v[vgprValuA_X3_I0+0+0+0], v[0:3]
 // Cr += Ar*Br
/*  mfmaIndex:49  */
/* localReadsVacancy: latencyLeft 5 */
v_mfma_f32_16x16x4_f32 v[16+0:19+0], v[vgprValuB_X3_I0+0+0+0], v[vgprValuA_X3_I0+0+0+0+1], v[16:19]
 // Ci += Ai*Br
/*  mfmaIndex:50  */
/* localReadsVacancy: latencyLeft 5 */
v_mfma_f32_16x16x4_f32 v[0+0:3+0], v[vgprValuB_X3_I0+0+0+0+1], v151, v[0:3]
 // Cr += -Ai*Bi
/*  mfmaIndex:51  */
/* localReadsVacancy: latencyLeft 5 */
v_mfma_f32_16x16x4_f32 v[16+0:19+0], v[vgprValuB_X3_I0+0+0+0+1], v[vgprValuA_X3_I0+0+0+0], v[16:19]
 // Ci += Ar*Bi
/*  mfmaIndex:52  */
/* localReadsVacancy: latencyLeft 5 */
v_mfma_f32_16x16x4_f32 v[4+0:7+0], v[vgprValuB_X3_I0+2+0+0], v[vgprValuA_X3_I0+0+0+0], v[4:7]
 // Cr += Ar*Br
/*  mfmaIndex:53  */
/* localReadsVacancy: latencyLeft 5 */
v_mfma_f32_16x16x4_f32 v[20+0:23+0], v[vgprValuB_X3_I0+2+0+0], v[vgprValuA_X3_I0+0+0+0+1], v[20:23]
 // Ci += Ai*Br
/*  mfmaIndex:54  */
/* localReadsVacancy: latencyLeft 5 */
v_mfma_f32_16x16x4_f32 v[4+0:7+0], v[vgprValuB_X3_I0+2+0+0+1], v151, v[4:7]
 // Cr += -Ai*Bi
/*  mfmaIndex:55  */
/* localReadsVacancy: latencyLeft 5 */
v_mfma_f32_16x16x4_f32 v[20+0:23+0], v[vgprValuB_X3_I0+2+0+0+1], v[vgprValuA_X3_I0+0+0+0], v[20:23]
 // Ci += Ar*Bi
/*  mfmaIndex:56  */
/* localReadsVacancy: latencyLeft 5 */
	;; [unrolled: 16-line block ×3, first 2 shown]
v_mfma_f32_16x16x4_f32 v[12+0:15+0], v[vgprValuB_X3_I0+6+0+0], v[vgprValuA_X3_I0+0+0+0], v[12:15]
 // Cr += Ar*Br
/*  mfmaIndex:61  */
/* localReadsVacancy: latencyLeft 5 */
v_mfma_f32_16x16x4_f32 v[28+0:31+0], v[vgprValuB_X3_I0+6+0+0], v[vgprValuA_X3_I0+0+0+0+1], v[28:31]
 // Ci += Ai*Br
/*  mfmaIndex:62  */
/* localReadsVacancy: latencyLeft 5 */
v_mfma_f32_16x16x4_f32 v[12+0:15+0], v[vgprValuB_X3_I0+6+0+0+1], v151, v[12:15]
 // Cr += -Ai*Bi
/*  mfmaIndex:63  */
/* localReadsVacancy: latencyLeft 5 */
v_mfma_f32_16x16x4_f32 v[28+0:31+0], v[vgprValuB_X3_I0+6+0+0+1], v[vgprValuA_X3_I0+0+0+0], v[28:31]
 // Ci += Ar*Bi
/* numPrefetchIter=0 */
/* dataAtIterA=2 numReadsIterA=4 skipReadsIterA=1 readsPerIterA=1 */
/* dataAtIterB=2 numReadsIterB=4 skipReadsIterB=1 readsPerIterB=4 */


/* iter 4 (last unrolled loop) */

/*  grEndMfmaIndex:0, lwStartMfmaIndex:120, lwEndMfmaIndex:120  */
/*  numMfmaForLR:5, barrierMfmaIndex:122, LocalWritePerMfma:0.115 */
/*  mfmaIndex:64  */
/* localReadsVacancy: latencyLeft 5 */
s_waitcnt lgkmcnt(5)                               // lgkmcnt=0 vmcnt=-1wait for prior local read local write old=0, new=0 newLW=0 newLR=0
v_add_f32 v151, -v[vgprValuA_X4_I0+0+0+0+1], 0     // Ai=-Ai
v_mfma_f32_16x16x4_f32 v[0+0:3+0], v[vgprValuB_X4_I0+0+0+0], v[vgprValuA_X4_I0+0+0+0], v[0:3]
 // Cr += Ar*Br
/*  mfmaIndex:65  */
/* localReadsVacancy: latencyLeft 5 */
v_mfma_f32_16x16x4_f32 v[16+0:19+0], v[vgprValuB_X4_I0+0+0+0], v[vgprValuA_X4_I0+0+0+0+1], v[16:19]
 // Ci += Ai*Br
/*  mfmaIndex:66  */
/* localReadsVacancy: latencyLeft 5 */
v_mfma_f32_16x16x4_f32 v[0+0:3+0], v[vgprValuB_X4_I0+0+0+0+1], v151, v[0:3]
 // Cr += -Ai*Bi
/*  mfmaIndex:67  */
/* localReadsVacancy: latencyLeft 5 */
v_mfma_f32_16x16x4_f32 v[16+0:19+0], v[vgprValuB_X4_I0+0+0+0+1], v[vgprValuA_X4_I0+0+0+0], v[16:19]
 // Ci += Ar*Bi
/*  mfmaIndex:68  */
/* localReadsVacancy: latencyLeft 5 */
v_mfma_f32_16x16x4_f32 v[4+0:7+0], v[vgprValuB_X4_I0+2+0+0], v[vgprValuA_X4_I0+0+0+0], v[4:7]
 // Cr += Ar*Br
/*  mfmaIndex:69  */
/* localReadsVacancy: latencyLeft 5 */
v_mfma_f32_16x16x4_f32 v[20+0:23+0], v[vgprValuB_X4_I0+2+0+0], v[vgprValuA_X4_I0+0+0+0+1], v[20:23]
 // Ci += Ai*Br
/*  mfmaIndex:70  */
/* localReadsVacancy: latencyLeft 5 */
v_mfma_f32_16x16x4_f32 v[4+0:7+0], v[vgprValuB_X4_I0+2+0+0+1], v151, v[4:7]
 // Cr += -Ai*Bi
/*  mfmaIndex:71  */
/* localReadsVacancy: latencyLeft 5 */
v_mfma_f32_16x16x4_f32 v[20+0:23+0], v[vgprValuB_X4_I0+2+0+0+1], v[vgprValuA_X4_I0+0+0+0], v[20:23]
 // Ci += Ar*Bi
/*  mfmaIndex:72  */
/* localReadsVacancy: latencyLeft 5 */
	;; [unrolled: 16-line block ×3, first 2 shown]
v_mfma_f32_16x16x4_f32 v[12+0:15+0], v[vgprValuB_X4_I0+6+0+0], v[vgprValuA_X4_I0+0+0+0], v[12:15]
 // Cr += Ar*Br
/*  mfmaIndex:77  */
/* localReadsVacancy: latencyLeft 5 */
v_mfma_f32_16x16x4_f32 v[28+0:31+0], v[vgprValuB_X4_I0+6+0+0], v[vgprValuA_X4_I0+0+0+0+1], v[28:31]
 // Ci += Ai*Br
/*  mfmaIndex:78  */
/* localReadsVacancy: latencyLeft 5 */
v_mfma_f32_16x16x4_f32 v[12+0:15+0], v[vgprValuB_X4_I0+6+0+0+1], v151, v[12:15]
 // Cr += -Ai*Bi
/*  mfmaIndex:79  */
/* localReadsVacancy: latencyLeft 5 */
v_mfma_f32_16x16x4_f32 v[28+0:31+0], v[vgprValuB_X4_I0+6+0+0+1], v[vgprValuA_X4_I0+0+0+0], v[28:31]
 // Ci += Ar*Bi
/* numPrefetchIter=0 */
/* dataAtIterA=3 numReadsIterA=5 skipReadsIterA=1 readsPerIterA=1 */
/* dataAtIterB=3 numReadsIterB=5 skipReadsIterB=1 readsPerIterB=4 */


/* iter 5 (last unrolled loop) */

/*  grEndMfmaIndex:0, lwStartMfmaIndex:120, lwEndMfmaIndex:120  */
/*  numMfmaForLR:5, barrierMfmaIndex:122, LocalWritePerMfma:0.115 */
/*  mfmaIndex:80  */
/* localReadsVacancy: latencyLeft 5 */
s_waitcnt lgkmcnt(5)                               // lgkmcnt=0 vmcnt=-1wait for prior local read local write old=0, new=0 newLW=0 newLR=0
v_add_f32 v151, -v[vgprValuA_X5_I0+0+0+0+1], 0     // Ai=-Ai
v_mfma_f32_16x16x4_f32 v[0+0:3+0], v[vgprValuB_X5_I0+0+0+0], v[vgprValuA_X5_I0+0+0+0], v[0:3]
 // Cr += Ar*Br
/*  mfmaIndex:81  */
/* localReadsVacancy: latencyLeft 5 */
v_mfma_f32_16x16x4_f32 v[16+0:19+0], v[vgprValuB_X5_I0+0+0+0], v[vgprValuA_X5_I0+0+0+0+1], v[16:19]
 // Ci += Ai*Br
/*  mfmaIndex:82  */
/* localReadsVacancy: latencyLeft 5 */
v_mfma_f32_16x16x4_f32 v[0+0:3+0], v[vgprValuB_X5_I0+0+0+0+1], v151, v[0:3]
 // Cr += -Ai*Bi
/*  mfmaIndex:83  */
/* localReadsVacancy: latencyLeft 5 */
v_mfma_f32_16x16x4_f32 v[16+0:19+0], v[vgprValuB_X5_I0+0+0+0+1], v[vgprValuA_X5_I0+0+0+0], v[16:19]
 // Ci += Ar*Bi
/*  mfmaIndex:84  */
/* localReadsVacancy: latencyLeft 5 */
v_mfma_f32_16x16x4_f32 v[4+0:7+0], v[vgprValuB_X5_I0+2+0+0], v[vgprValuA_X5_I0+0+0+0], v[4:7]
 // Cr += Ar*Br
/*  mfmaIndex:85  */
/* localReadsVacancy: latencyLeft 5 */
v_mfma_f32_16x16x4_f32 v[20+0:23+0], v[vgprValuB_X5_I0+2+0+0], v[vgprValuA_X5_I0+0+0+0+1], v[20:23]
 // Ci += Ai*Br
/*  mfmaIndex:86  */
/* localReadsVacancy: latencyLeft 5 */
v_mfma_f32_16x16x4_f32 v[4+0:7+0], v[vgprValuB_X5_I0+2+0+0+1], v151, v[4:7]
 // Cr += -Ai*Bi
/*  mfmaIndex:87  */
/* localReadsVacancy: latencyLeft 5 */
v_mfma_f32_16x16x4_f32 v[20+0:23+0], v[vgprValuB_X5_I0+2+0+0+1], v[vgprValuA_X5_I0+0+0+0], v[20:23]
 // Ci += Ar*Bi
/*  mfmaIndex:88  */
/* localReadsVacancy: latencyLeft 5 */
	;; [unrolled: 16-line block ×3, first 2 shown]
v_mfma_f32_16x16x4_f32 v[12+0:15+0], v[vgprValuB_X5_I0+6+0+0], v[vgprValuA_X5_I0+0+0+0], v[12:15]
 // Cr += Ar*Br
/*  mfmaIndex:93  */
/* localReadsVacancy: latencyLeft 5 */
v_mfma_f32_16x16x4_f32 v[28+0:31+0], v[vgprValuB_X5_I0+6+0+0], v[vgprValuA_X5_I0+0+0+0+1], v[28:31]
 // Ci += Ai*Br
/*  mfmaIndex:94  */
/* localReadsVacancy: latencyLeft 5 */
v_mfma_f32_16x16x4_f32 v[12+0:15+0], v[vgprValuB_X5_I0+6+0+0+1], v151, v[12:15]
 // Cr += -Ai*Bi
/*  mfmaIndex:95  */
/* localReadsVacancy: latencyLeft 5 */
v_mfma_f32_16x16x4_f32 v[28+0:31+0], v[vgprValuB_X5_I0+6+0+0+1], v[vgprValuA_X5_I0+0+0+0], v[28:31]
 // Ci += Ar*Bi
/* numPrefetchIter=0 */
/* dataAtIterA=4 numReadsIterA=6 skipReadsIterA=1 readsPerIterA=1 */
/* dataAtIterB=4 numReadsIterB=6 skipReadsIterB=1 readsPerIterB=4 */


/* iter 6 (last unrolled loop) */

/*  grEndMfmaIndex:0, lwStartMfmaIndex:120, lwEndMfmaIndex:120  */
/*  numMfmaForLR:5, barrierMfmaIndex:122, LocalWritePerMfma:0.115 */
/*  mfmaIndex:96  */
/* localReadsVacancy: latencyLeft 5 */
s_waitcnt lgkmcnt(5)                               // lgkmcnt=0 vmcnt=-1wait for prior local read local write old=5, new=5 newLW=0 newLR=0
v_add_f32 v151, -v[vgprValuA_X6_I0+0+0+0+1], 0     // Ai=-Ai
v_mfma_f32_16x16x4_f32 v[0+0:3+0], v[vgprValuB_X6_I0+0+0+0], v[vgprValuA_X6_I0+0+0+0], v[0:3]
 // Cr += Ar*Br
/*  mfmaIndex:97  */
/* localReadsVacancy: latencyLeft 5 */
v_mfma_f32_16x16x4_f32 v[16+0:19+0], v[vgprValuB_X6_I0+0+0+0], v[vgprValuA_X6_I0+0+0+0+1], v[16:19]
 // Ci += Ai*Br
/*  mfmaIndex:98  */
/* localReadsVacancy: latencyLeft 5 */
v_mfma_f32_16x16x4_f32 v[0+0:3+0], v[vgprValuB_X6_I0+0+0+0+1], v151, v[0:3]
 // Cr += -Ai*Bi
/*  mfmaIndex:99  */
/* localReadsVacancy: latencyLeft 5 */
v_mfma_f32_16x16x4_f32 v[16+0:19+0], v[vgprValuB_X6_I0+0+0+0+1], v[vgprValuA_X6_I0+0+0+0], v[16:19]
 // Ci += Ar*Bi
/*  mfmaIndex:100  */
/* localReadsVacancy: latencyLeft 5 */
v_mfma_f32_16x16x4_f32 v[4+0:7+0], v[vgprValuB_X6_I0+2+0+0], v[vgprValuA_X6_I0+0+0+0], v[4:7]
 // Cr += Ar*Br
/*  mfmaIndex:101  */
/* localReadsVacancy: latencyLeft 5 */
v_mfma_f32_16x16x4_f32 v[20+0:23+0], v[vgprValuB_X6_I0+2+0+0], v[vgprValuA_X6_I0+0+0+0+1], v[20:23]
 // Ci += Ai*Br
/*  mfmaIndex:102  */
/* localReadsVacancy: latencyLeft 5 */
v_mfma_f32_16x16x4_f32 v[4+0:7+0], v[vgprValuB_X6_I0+2+0+0+1], v151, v[4:7]
 // Cr += -Ai*Bi
/*  mfmaIndex:103  */
/* localReadsVacancy: latencyLeft 5 */
v_mfma_f32_16x16x4_f32 v[20+0:23+0], v[vgprValuB_X6_I0+2+0+0+1], v[vgprValuA_X6_I0+0+0+0], v[20:23]
 // Ci += Ar*Bi
/*  mfmaIndex:104  */
/* localReadsVacancy: latencyLeft 5 */
	;; [unrolled: 16-line block ×3, first 2 shown]
v_mfma_f32_16x16x4_f32 v[12+0:15+0], v[vgprValuB_X6_I0+6+0+0], v[vgprValuA_X6_I0+0+0+0], v[12:15]
 // Cr += Ar*Br
/*  mfmaIndex:109  */
/* localReadsVacancy: latencyLeft 5 */
v_mfma_f32_16x16x4_f32 v[28+0:31+0], v[vgprValuB_X6_I0+6+0+0], v[vgprValuA_X6_I0+0+0+0+1], v[28:31]
 // Ci += Ai*Br
/*  mfmaIndex:110  */
/* localReadsVacancy: latencyLeft 5 */
v_mfma_f32_16x16x4_f32 v[12+0:15+0], v[vgprValuB_X6_I0+6+0+0+1], v151, v[12:15]
 // Cr += -Ai*Bi
/*  mfmaIndex:111  */
/* localReadsVacancy: latencyLeft 5 */
v_mfma_f32_16x16x4_f32 v[28+0:31+0], v[vgprValuB_X6_I0+6+0+0+1], v[vgprValuA_X6_I0+0+0+0], v[28:31]
 // Ci += Ar*Bi
/* numPrefetchIter=0 */
/* dataAtIterA=5 numReadsIterA=7 skipReadsIterA=1 readsPerIterA=1 */
/* dataAtIterB=5 numReadsIterB=7 skipReadsIterB=1 readsPerIterB=4 */


/* iter 7 (last unrolled loop) */

/*  grEndMfmaIndex:0, lwStartMfmaIndex:120, lwEndMfmaIndex:120  */
/*  numMfmaForLR:5, barrierMfmaIndex:122, LocalWritePerMfma:0.115 */
/*  mfmaIndex:112  */
s_waitcnt lgkmcnt(0)                               // lgkmcnt=0 vmcnt=-1wait for prior local read local write old=0, new=0 newLW=0 newLR=0
v_add_f32 v151, -v[vgprValuA_X7_I0+0+0+0+1], 0     // Ai=-Ai
v_mfma_f32_16x16x4_f32 v[0+0:3+0], v[vgprValuB_X7_I0+0+0+0], v[vgprValuA_X7_I0+0+0+0], v[0:3]
 // Cr += Ar*Br
/*  mfmaIndex:113  */
v_mfma_f32_16x16x4_f32 v[16+0:19+0], v[vgprValuB_X7_I0+0+0+0], v[vgprValuA_X7_I0+0+0+0+1], v[16:19]
 // Ci += Ai*Br
/*  mfmaIndex:114  */
v_mfma_f32_16x16x4_f32 v[0+0:3+0], v[vgprValuB_X7_I0+0+0+0+1], v151, v[0:3]
 // Cr += -Ai*Bi
/*  mfmaIndex:115  */
v_mfma_f32_16x16x4_f32 v[16+0:19+0], v[vgprValuB_X7_I0+0+0+0+1], v[vgprValuA_X7_I0+0+0+0], v[16:19]
 // Ci += Ar*Bi
/*  mfmaIndex:116  */
v_mfma_f32_16x16x4_f32 v[4+0:7+0], v[vgprValuB_X7_I0+2+0+0], v[vgprValuA_X7_I0+0+0+0], v[4:7]
 // Cr += Ar*Br
/*  mfmaIndex:117  */
v_mfma_f32_16x16x4_f32 v[20+0:23+0], v[vgprValuB_X7_I0+2+0+0], v[vgprValuA_X7_I0+0+0+0+1], v[20:23]
 // Ci += Ai*Br
/*  mfmaIndex:118  */
v_mfma_f32_16x16x4_f32 v[4+0:7+0], v[vgprValuB_X7_I0+2+0+0+1], v151, v[4:7]
 // Cr += -Ai*Bi
/*  mfmaIndex:119  */
/* 1 LDS buffer: read-sync-write */
s_waitcnt lgkmcnt(0)                               // 
s_barrier                                          // 
v_mfma_f32_16x16x4_f32 v[20+0:23+0], v[vgprValuB_X7_I0+2+0+0+1], v[vgprValuA_X7_I0+0+0+0], v[20:23]
 // Ci += Ar*Bi
/*  mfmaIndex:120  */
v_mfma_f32_16x16x4_f32 v[8+0:11+0], v[vgprValuB_X7_I0+4+0+0], v[vgprValuA_X7_I0+0+0+0], v[8:11]
 // Cr += Ar*Br
/*  mfmaIndex:121  */
v_mfma_f32_16x16x4_f32 v[24+0:27+0], v[vgprValuB_X7_I0+4+0+0], v[vgprValuA_X7_I0+0+0+0+1], v[24:27]
 // Ci += Ai*Br
/*  mfmaIndex:122  */
v_mfma_f32_16x16x4_f32 v[8+0:11+0], v[vgprValuB_X7_I0+4+0+0+1], v151, v[8:11]
 // Cr += -Ai*Bi
/*  mfmaIndex:123  */
v_mfma_f32_16x16x4_f32 v[24+0:27+0], v[vgprValuB_X7_I0+4+0+0+1], v[vgprValuA_X7_I0+0+0+0], v[24:27]
 // Ci += Ar*Bi
/*  mfmaIndex:124  */
v_mfma_f32_16x16x4_f32 v[12+0:15+0], v[vgprValuB_X7_I0+6+0+0], v[vgprValuA_X7_I0+0+0+0], v[12:15]
 // Cr += Ar*Br
/*  mfmaIndex:125  */
v_mfma_f32_16x16x4_f32 v[28+0:31+0], v[vgprValuB_X7_I0+6+0+0], v[vgprValuA_X7_I0+0+0+0+1], v[28:31]
 // Ci += Ai*Br
/*  mfmaIndex:126  */
v_mfma_f32_16x16x4_f32 v[12+0:15+0], v[vgprValuB_X7_I0+6+0+0+1], v151, v[12:15]
 // Cr += -Ai*Bi
/*  mfmaIndex:127  */
v_mfma_f32_16x16x4_f32 v[28+0:31+0], v[vgprValuB_X7_I0+6+0+0+1], v[vgprValuA_X7_I0+0+0+0], v[28:31]
 // Ci += Ar*Bi
/* numPrefetchIter=0 */
/* dataAtIterA=6 numReadsIterA=7 skipReadsIterA=0 readsPerIterA=1 */
/* dataAtIterB=6 numReadsIterB=7 skipReadsIterB=0 readsPerIterB=4 */

/* Stores for OptNLL */
Summation_End_OptNLL_18:
/* endSummation: add vgpr [32...148) to pool */
.set ScalarGlobalReadOffsetB, UNDEF

/* Mapping of Acc register -> C Vgpr register */

/* Multiply MI out register with Alpha -> C Vgpr register */
/* computeStoreVgprs */
v_lshrrev_b32 v36, 6, v[vgprSerial]                // v36 = v[vgprSerial] / 64
v_and_b32 v33, 63, v[vgprSerial]                   // v33 = v[vgprSerial] % 64
v_lshrrev_b32 v33, 4, v33                          // v33 = v33 / 16
v_lshlrev_b32 v33, 0x2, v33                        // thread0 * continuous_output
v_lshrrev_b32 v37, 2, v36                          // v37 = v36 / 4
v_mul_lo_u32 v37, 0x10, v37                        // wave coordination offset 1
_v_add_lshl_u32 v33, v37, v33, 0                   // coordination 1 = vwb *(wave_id1 + tid1)
v_mul_lo_u32 v34, v33, s[sgprStrideC1J]            //  offset 1
v_mul_lo_u32 v35, v33, s[sgprStrideD1J]            //  offset 1
v_and_b32 v37, 3, v36                              // v37 = v36 % 4
v_mul_lo_u32 v37, 0x10, v37                        // wave coordination offset 0
v_and_b32 v32, 15, v[vgprSerial]                   // v32 = v[vgprSerial] % 16
_v_add_lshl_u32 v32, v37, v32, 0                   // coordination 0 = vwa *(wave_id0 + tid0)
s_mul_i32 s34, 64, s[sgprWorkGroup0]               // wgp0 * MT0
_v_add_u32 v32, s34, v32                           // coord 0 = (tid0/MI_m)*4 + waveG0*MIB_m + MT0*SG0
s_mul_i32 s34, 64, s[sgprWorkGroup1]               // wgp1 * MT1
_v_add_u32 v33, s34, v33                           // coord 1 = (tid0%MI_m) + waveG1*MIB_n + MT1*SG1
GW_B0_E0_21:

/* edge=0, allocate 2 sgpr. perBatchTmpS=2 perBatchMaskS=0 perElementMaskS=0 elementsPerBatch=4 */
/* optSingleColVgpr=1 optSharedColVgpr=0 optSGPRUsage=BufferLoad_Mask optSrdIncForRow=1 */

/******************************************/
/* Global Write Batch #0 (d1,d0,vc1,vc0) = */
/*    (0,0,0,0:vw1); (0,0,1,0:vw1); (0,0,2,0:vw1); (0,0,3,0:vw1) */
/******************************************/

/* calc coords, apply mask, and issue loads (if necessary) */
/* (d1,vc1,d0,vc0)=(0,0,0,0) */
/* (d1,vc1,d0,vc0)=(0,1,0,0) */
	;; [unrolled: 1-line block ×4, first 2 shown]
_v_add_lshl_u32 v38, v35, v32, 0x3                 // optSingleColVgpr scaleToBpe: sharedAddrVgpr <- cinRowPtr + coord0, scaled by BPE. BSHERE:coord0=32, coord0Vgpr=32
v_mov_b32 v[vgprValuC+40], v[vgprValuC+0] // copy MI out reg to vreg[0]
v_mov_b32 v[vgprValuC+41], v[vgprValuC+16] // copy MI out reg to vreg[1]
	;; [unrolled: 1-line block ×8, first 2 shown]

/* apply mask, calc new C and issue writes */
_buffer_store_b64 v[40:41], v38, s[sgprSrdD:sgprSrdD+3], 0, offen, offset:0 // store D
s_lshl_b32  s34, s[sgprStrideD1J], 3               // incToNextRow: Scale by BPE
s_add_u32  s[sgprSrdD+0], s[sgprSrdD+0], s34       // incToNextRow: gra SRD += inc(lower)
s_addc_u32  s[sgprSrdD+1], s[sgprSrdD+1], 0        // incToNextRow: gra SRD += inc(upper)
_buffer_store_b64 v[42:43], v38, s[sgprSrdD:sgprSrdD+3], 0, offen, offset:0 // store D
s_lshl_b32  s34, s[sgprStrideD1J], 3               // incToNextRow: Scale by BPE
s_add_u32  s[sgprSrdD+0], s[sgprSrdD+0], s34       // incToNextRow: gra SRD += inc(lower)
s_addc_u32  s[sgprSrdD+1], s[sgprSrdD+1], 0        // incToNextRow: gra SRD += inc(upper)
_buffer_store_b64 v[44:45], v38, s[sgprSrdD:sgprSrdD+3], 0, offen, offset:0 // store D
s_lshl_b32  s34, s[sgprStrideD1J], 3               // incToNextRow: Scale by BPE
s_add_u32  s[sgprSrdD+0], s[sgprSrdD+0], s34       // incToNextRow: gra SRD += inc(lower)
s_addc_u32  s[sgprSrdD+1], s[sgprSrdD+1], 0        // incToNextRow: gra SRD += inc(upper)
_buffer_store_b64 v[46:47], v38, s[sgprSrdD:sgprSrdD+3], 0, offen, offset:0 // store D
s_nop 0                                            // 1 wait state required when next inst writes vgprs held by previous dwordx4 store inst
/* optSingleColVgpr=1 optSharedColVgpr=0 optSGPRUsage=BufferLoad_Mask optSrdIncForRow=1 */

/******************************************/
/* Global Write Batch #1 (d1,d0,vc1,vc0) = */
/*    (1,0,0,0:vw1); (1,0,1,0:vw1); (1,0,2,0:vw1); (1,0,3,0:vw1) */
/******************************************/

/* calc coords, apply mask, and issue loads (if necessary) */
/* (d1,vc1,d0,vc0)=(1,0,0,0) */
/* (d1,vc1,d0,vc0)=(1,1,0,0) */
/* (d1,vc1,d0,vc0)=(1,2,0,0) */
/* (d1,vc1,d0,vc0)=(1,3,0,0) */
v_mov_b32 v[vgprValuC+40], v[vgprValuC+4] // copy MI out reg to vreg[8]
v_mov_b32 v[vgprValuC+41], v[vgprValuC+20] // copy MI out reg to vreg[9]
v_mov_b32 v[vgprValuC+42], v[vgprValuC+5] // copy MI out reg to vreg[10]
v_mov_b32 v[vgprValuC+43], v[vgprValuC+21] // copy MI out reg to vreg[11]
v_mov_b32 v[vgprValuC+44], v[vgprValuC+6] // copy MI out reg to vreg[12]
v_mov_b32 v[vgprValuC+45], v[vgprValuC+22] // copy MI out reg to vreg[13]
v_mov_b32 v[vgprValuC+46], v[vgprValuC+7] // copy MI out reg to vreg[14]
v_mov_b32 v[vgprValuC+47], v[vgprValuC+23] // copy MI out reg to vreg[15]

/* apply mask, calc new C and issue writes */
s_mul_i32 s34, s[sgprStrideD1J], 104               // scale StrideD *= numRows(13) * bpe
s_add_u32  s[sgprSrdD+0], s[sgprSrdD+0], s34       // incToNextRow: gra SRD += inc(lower)
s_addc_u32  s[sgprSrdD+1], s[sgprSrdD+1], 0        // incToNextRow: gra SRD += inc(upper)
_buffer_store_b64 v[40:41], v38, s[sgprSrdD:sgprSrdD+3], 0, offen, offset:0 // store D
s_lshl_b32  s34, s[sgprStrideD1J], 3               // incToNextRow: Scale by BPE
s_add_u32  s[sgprSrdD+0], s[sgprSrdD+0], s34       // incToNextRow: gra SRD += inc(lower)
s_addc_u32  s[sgprSrdD+1], s[sgprSrdD+1], 0        // incToNextRow: gra SRD += inc(upper)
_buffer_store_b64 v[42:43], v38, s[sgprSrdD:sgprSrdD+3], 0, offen, offset:0 // store D
s_lshl_b32  s34, s[sgprStrideD1J], 3               // incToNextRow: Scale by BPE
s_add_u32  s[sgprSrdD+0], s[sgprSrdD+0], s34       // incToNextRow: gra SRD += inc(lower)
s_addc_u32  s[sgprSrdD+1], s[sgprSrdD+1], 0        // incToNextRow: gra SRD += inc(upper)
_buffer_store_b64 v[44:45], v38, s[sgprSrdD:sgprSrdD+3], 0, offen, offset:0 // store D
s_lshl_b32  s34, s[sgprStrideD1J], 3               // incToNextRow: Scale by BPE
s_add_u32  s[sgprSrdD+0], s[sgprSrdD+0], s34       // incToNextRow: gra SRD += inc(lower)
s_addc_u32  s[sgprSrdD+1], s[sgprSrdD+1], 0        // incToNextRow: gra SRD += inc(upper)
_buffer_store_b64 v[46:47], v38, s[sgprSrdD:sgprSrdD+3], 0, offen, offset:0 // store D
s_nop 0                                            // 1 wait state required when next inst writes vgprs held by previous dwordx4 store inst
/* optSingleColVgpr=1 optSharedColVgpr=0 optSGPRUsage=BufferLoad_Mask optSrdIncForRow=1 */

/******************************************/
/* Global Write Batch #2 (d1,d0,vc1,vc0) = */
/*    (2,0,0,0:vw1); (2,0,1,0:vw1); (2,0,2,0:vw1); (2,0,3,0:vw1) */
/******************************************/

/* calc coords, apply mask, and issue loads (if necessary) */
/* (d1,vc1,d0,vc0)=(2,0,0,0) */
/* (d1,vc1,d0,vc0)=(2,1,0,0) */
/* (d1,vc1,d0,vc0)=(2,2,0,0) */
/* (d1,vc1,d0,vc0)=(2,3,0,0) */
v_mov_b32 v[vgprValuC+40], v[vgprValuC+8] // copy MI out reg to vreg[16]
v_mov_b32 v[vgprValuC+41], v[vgprValuC+24] // copy MI out reg to vreg[17]
v_mov_b32 v[vgprValuC+42], v[vgprValuC+9] // copy MI out reg to vreg[18]
v_mov_b32 v[vgprValuC+43], v[vgprValuC+25] // copy MI out reg to vreg[19]
v_mov_b32 v[vgprValuC+44], v[vgprValuC+10] // copy MI out reg to vreg[20]
v_mov_b32 v[vgprValuC+45], v[vgprValuC+26] // copy MI out reg to vreg[21]
v_mov_b32 v[vgprValuC+46], v[vgprValuC+11] // copy MI out reg to vreg[22]
v_mov_b32 v[vgprValuC+47], v[vgprValuC+27] // copy MI out reg to vreg[23]

/* apply mask, calc new C and issue writes */
s_mul_i32 s34, s[sgprStrideD1J], 104               // scale StrideD *= numRows(13) * bpe
s_add_u32  s[sgprSrdD+0], s[sgprSrdD+0], s34       // incToNextRow: gra SRD += inc(lower)
s_addc_u32  s[sgprSrdD+1], s[sgprSrdD+1], 0        // incToNextRow: gra SRD += inc(upper)
	;; [unrolled: 39-line block ×3, first 2 shown]
_buffer_store_b64 v[40:41], v38, s[sgprSrdD:sgprSrdD+3], 0, offen, offset:0 // store D
s_lshl_b32  s34, s[sgprStrideD1J], 3               // incToNextRow: Scale by BPE
s_add_u32  s[sgprSrdD+0], s[sgprSrdD+0], s34       // incToNextRow: gra SRD += inc(lower)
s_addc_u32  s[sgprSrdD+1], s[sgprSrdD+1], 0        // incToNextRow: gra SRD += inc(upper)
_buffer_store_b64 v[42:43], v38, s[sgprSrdD:sgprSrdD+3], 0, offen, offset:0 // store D
s_lshl_b32  s34, s[sgprStrideD1J], 3               // incToNextRow: Scale by BPE
s_add_u32  s[sgprSrdD+0], s[sgprSrdD+0], s34       // incToNextRow: gra SRD += inc(lower)
s_addc_u32  s[sgprSrdD+1], s[sgprSrdD+1], 0        // incToNextRow: gra SRD += inc(upper)
	;; [unrolled: 4-line block ×3, first 2 shown]
_buffer_store_b64 v[46:47], v38, s[sgprSrdD:sgprSrdD+3], 0, offen, offset:0 // store D
s_nop 0                                            // 1 wait state required when next inst writes vgprs held by previous dwordx4 store inst
s_branch label_GW_End_23                           // jump to end
label_GW_End_23:

s_endpgm                                           // Kernel End
OptNLL_End_17:


/******************************************/
/* Ord. NoLoadLoop - Begin                                      */
/******************************************/


	;; [unrolled: 1-line block ×4, first 2 shown]
/* iter 0 (last unrolled loop) */

/*  grEndMfmaIndex:0, lwStartMfmaIndex:120, lwEndMfmaIndex:120  */
/*  numMfmaForLR:5, barrierMfmaIndex:122, LocalWritePerMfma:0.115 */
/*  mfmaIndex:0  */
s_waitcnt lgkmcnt(0)                               // lgkmcnt=0 vmcnt=-1wait for prior local read local write old=0, new=0 newLW=0 newLR=0
v_add_f32 v151, -v[vgprValuA_X0_I0+0+0+0+1], 0     // Ai=-Ai
v_mfma_f32_16x16x4_f32 v[0+0:3+0], v[vgprValuB_X0_I0+0+0+0], v[vgprValuA_X0_I0+0+0+0], v[0:3]
 // Cr += Ar*Br
/*  mfmaIndex:1  */
_ds_load_b64 v[vgprValuA_X1_I0+0:vgprValuA_X1_I0+0+1], v[vgprLocalReadAddrA] offset:2048 // L -> Reg lro=256 swapByteOffset=0 ti=64 vIdx=0 rIdx=0 oIdx=0 buffer=1 iui=0
_ds_load_b64 v[vgprValuB_X1_I0+0:vgprValuB_X1_I0+0+1], v[vgprLocalReadAddrB] offset:32 // L -> Reg lro=4 swapByteOffset=0 ti=16 vIdx=0 rIdx=0 oIdx=0 buffer=1 iui=0
v_mfma_f32_16x16x4_f32 v[16+0:19+0], v[vgprValuB_X0_I0+0+0+0], v[vgprValuA_X0_I0+0+0+0+1], v[16:19]
 // Ci += Ai*Br
/*  mfmaIndex:2  */
_ds_load_b64 v[vgprValuB_X1_I0+2:vgprValuB_X1_I0+2+1], v[vgprLocalReadAddrB] offset:4256 // L -> Reg lro=4 swapByteOffset=0 ti=16 vIdx=1 rIdx=0 oIdx=0 buffer=1 iui=0
_ds_load_b64 v[vgprValuB_X1_I0+4:vgprValuB_X1_I0+4+1], v[vgprLocalReadAddrB] offset:8480 // L -> Reg lro=4 swapByteOffset=0 ti=16 vIdx=2 rIdx=0 oIdx=0 buffer=1 iui=0
v_mfma_f32_16x16x4_f32 v[0+0:3+0], v[vgprValuB_X0_I0+0+0+0+1], v151, v[0:3]
 // Cr += -Ai*Bi
/*  mfmaIndex:3  */
_ds_load_b64 v[vgprValuB_X1_I0+6:vgprValuB_X1_I0+6+1], v[vgprLocalReadAddrB] offset:12704 // L -> Reg lro=4 swapByteOffset=0 ti=16 vIdx=3 rIdx=0 oIdx=0 buffer=1 iui=0
/* localReadsVacancy: latencyLeft 3 */
_ds_load_b64 v[vgprValuA_X2_I0+0:vgprValuA_X2_I0+0+1], v[vgprLocalReadAddrA] offset:4096 // L -> Reg lro=512 swapByteOffset=0 ti=64 vIdx=0 rIdx=0 oIdx=0 buffer=2 iui=0
v_mfma_f32_16x16x4_f32 v[16+0:19+0], v[vgprValuB_X0_I0+0+0+0+1], v[vgprValuA_X0_I0+0+0+0], v[16:19]
 // Ci += Ar*Bi
/*  mfmaIndex:4  */
/* localReadsVacancy: latencyLeft 5 */
_ds_load_b64 v[vgprValuB_X2_I0+0:vgprValuB_X2_I0+0+1], v[vgprLocalReadAddrB] offset:64 // L -> Reg lro=8 swapByteOffset=0 ti=16 vIdx=0 rIdx=0 oIdx=0 buffer=2 iui=0
_ds_load_b64 v[vgprValuB_X2_I0+2:vgprValuB_X2_I0+2+1], v[vgprLocalReadAddrB] offset:4288 // L -> Reg lro=8 swapByteOffset=0 ti=16 vIdx=1 rIdx=0 oIdx=0 buffer=2 iui=0
v_mfma_f32_16x16x4_f32 v[4+0:7+0], v[vgprValuB_X0_I0+2+0+0], v[vgprValuA_X0_I0+0+0+0], v[4:7]
 // Cr += Ar*Br
/*  mfmaIndex:5  */
/* localReadsVacancy: latencyLeft 5 */
_ds_load_b64 v[vgprValuB_X2_I0+4:vgprValuB_X2_I0+4+1], v[vgprLocalReadAddrB] offset:8512 // L -> Reg lro=8 swapByteOffset=0 ti=16 vIdx=2 rIdx=0 oIdx=0 buffer=2 iui=0
_ds_load_b64 v[vgprValuB_X2_I0+6:vgprValuB_X2_I0+6+1], v[vgprLocalReadAddrB] offset:12736 // L -> Reg lro=8 swapByteOffset=0 ti=16 vIdx=3 rIdx=0 oIdx=0 buffer=2 iui=0
v_mfma_f32_16x16x4_f32 v[20+0:23+0], v[vgprValuB_X0_I0+2+0+0], v[vgprValuA_X0_I0+0+0+0+1], v[20:23]
 // Ci += Ai*Br
/*  mfmaIndex:6  */
/* localReadsVacancy: latencyLeft 5 */
_ds_load_b64 v[vgprValuA_X3_I0+0:vgprValuA_X3_I0+0+1], v[vgprLocalReadAddrA] offset:6144 // L -> Reg lro=768 swapByteOffset=0 ti=64 vIdx=0 rIdx=0 oIdx=0 buffer=3 iui=0
_ds_load_b64 v[vgprValuB_X3_I0+0:vgprValuB_X3_I0+0+1], v[vgprLocalReadAddrB] offset:96 // L -> Reg lro=12 swapByteOffset=0 ti=16 vIdx=0 rIdx=0 oIdx=0 buffer=3 iui=0
v_mfma_f32_16x16x4_f32 v[4+0:7+0], v[vgprValuB_X0_I0+2+0+0+1], v151, v[4:7]
 // Cr += -Ai*Bi
/*  mfmaIndex:7  */
/* localReadsVacancy: latencyLeft 5 */
_ds_load_b64 v[vgprValuB_X3_I0+2:vgprValuB_X3_I0+2+1], v[vgprLocalReadAddrB] offset:4320 // L -> Reg lro=12 swapByteOffset=0 ti=16 vIdx=1 rIdx=0 oIdx=0 buffer=3 iui=0
_ds_load_b64 v[vgprValuB_X3_I0+4:vgprValuB_X3_I0+4+1], v[vgprLocalReadAddrB] offset:8544 // L -> Reg lro=12 swapByteOffset=0 ti=16 vIdx=2 rIdx=0 oIdx=0 buffer=3 iui=0
v_mfma_f32_16x16x4_f32 v[20+0:23+0], v[vgprValuB_X0_I0+2+0+0+1], v[vgprValuA_X0_I0+0+0+0], v[20:23]
 // Ci += Ar*Bi
/*  mfmaIndex:8  */
/* localReadsVacancy: latencyLeft 5 */
_ds_load_b64 v[vgprValuB_X3_I0+6:vgprValuB_X3_I0+6+1], v[vgprLocalReadAddrB] offset:12768 // L -> Reg lro=12 swapByteOffset=0 ti=16 vIdx=3 rIdx=0 oIdx=0 buffer=3 iui=0
_ds_load_b64 v[vgprValuA_X4_I0+0:vgprValuA_X4_I0+0+1], v[vgprLocalReadAddrA] offset:8192 // L -> Reg lro=1024 swapByteOffset=0 ti=64 vIdx=0 rIdx=0 oIdx=0 buffer=4 iui=0
v_mfma_f32_16x16x4_f32 v[8+0:11+0], v[vgprValuB_X0_I0+4+0+0], v[vgprValuA_X0_I0+0+0+0], v[8:11]
 // Cr += Ar*Br
/*  mfmaIndex:9  */
/* localReadsVacancy: latencyLeft 5 */
_ds_load_b64 v[vgprValuB_X4_I0+0:vgprValuB_X4_I0+0+1], v[vgprLocalReadAddrB] offset:128 // L -> Reg lro=16 swapByteOffset=0 ti=16 vIdx=0 rIdx=0 oIdx=0 buffer=4 iui=0
_ds_load_b64 v[vgprValuB_X4_I0+2:vgprValuB_X4_I0+2+1], v[vgprLocalReadAddrB] offset:4352 // L -> Reg lro=16 swapByteOffset=0 ti=16 vIdx=1 rIdx=0 oIdx=0 buffer=4 iui=0
v_mfma_f32_16x16x4_f32 v[24+0:27+0], v[vgprValuB_X0_I0+4+0+0], v[vgprValuA_X0_I0+0+0+0+1], v[24:27]
 // Ci += Ai*Br
/*  mfmaIndex:10  */
/* localReadsVacancy: latencyLeft 5 */
_ds_load_b64 v[vgprValuB_X4_I0+4:vgprValuB_X4_I0+4+1], v[vgprLocalReadAddrB] offset:8576 // L -> Reg lro=16 swapByteOffset=0 ti=16 vIdx=2 rIdx=0 oIdx=0 buffer=4 iui=0
_ds_load_b64 v[vgprValuB_X4_I0+6:vgprValuB_X4_I0+6+1], v[vgprLocalReadAddrB] offset:12800 // L -> Reg lro=16 swapByteOffset=0 ti=16 vIdx=3 rIdx=0 oIdx=0 buffer=4 iui=0
v_mfma_f32_16x16x4_f32 v[8+0:11+0], v[vgprValuB_X0_I0+4+0+0+1], v151, v[8:11]
 // Cr += -Ai*Bi
/*  mfmaIndex:11  */
/* localReadsVacancy: latencyLeft 5 */
_ds_load_b64 v[vgprValuA_X5_I0+0:vgprValuA_X5_I0+0+1], v[vgprLocalReadAddrA] offset:10240 // L -> Reg lro=1280 swapByteOffset=0 ti=64 vIdx=0 rIdx=0 oIdx=0 buffer=5 iui=0
_ds_load_b64 v[vgprValuB_X5_I0+0:vgprValuB_X5_I0+0+1], v[vgprLocalReadAddrB] offset:160 // L -> Reg lro=20 swapByteOffset=0 ti=16 vIdx=0 rIdx=0 oIdx=0 buffer=5 iui=0
v_mfma_f32_16x16x4_f32 v[24+0:27+0], v[vgprValuB_X0_I0+4+0+0+1], v[vgprValuA_X0_I0+0+0+0], v[24:27]
 // Ci += Ar*Bi
/*  mfmaIndex:12  */
/* localReadsVacancy: latencyLeft 5 */
_ds_load_b64 v[vgprValuB_X5_I0+2:vgprValuB_X5_I0+2+1], v[vgprLocalReadAddrB] offset:4384 // L -> Reg lro=20 swapByteOffset=0 ti=16 vIdx=1 rIdx=0 oIdx=0 buffer=5 iui=0
_ds_load_b64 v[vgprValuB_X5_I0+4:vgprValuB_X5_I0+4+1], v[vgprLocalReadAddrB] offset:8608 // L -> Reg lro=20 swapByteOffset=0 ti=16 vIdx=2 rIdx=0 oIdx=0 buffer=5 iui=0
v_mfma_f32_16x16x4_f32 v[12+0:15+0], v[vgprValuB_X0_I0+6+0+0], v[vgprValuA_X0_I0+0+0+0], v[12:15]
 // Cr += Ar*Br
/*  mfmaIndex:13  */
/* localReadsVacancy: latencyLeft 5 */
_ds_load_b64 v[vgprValuB_X5_I0+6:vgprValuB_X5_I0+6+1], v[vgprLocalReadAddrB] offset:12832 // L -> Reg lro=20 swapByteOffset=0 ti=16 vIdx=3 rIdx=0 oIdx=0 buffer=5 iui=0
_ds_load_b64 v[vgprValuA_X6_I0+0:vgprValuA_X6_I0+0+1], v[vgprLocalReadAddrA] offset:12288 // L -> Reg lro=1536 swapByteOffset=0 ti=64 vIdx=0 rIdx=0 oIdx=0 buffer=6 iui=0
v_mfma_f32_16x16x4_f32 v[28+0:31+0], v[vgprValuB_X0_I0+6+0+0], v[vgprValuA_X0_I0+0+0+0+1], v[28:31]
 // Ci += Ai*Br
/*  mfmaIndex:14  */
/* localReadsVacancy: latencyLeft 5 */
_ds_load_b64 v[vgprValuB_X6_I0+0:vgprValuB_X6_I0+0+1], v[vgprLocalReadAddrB] offset:192 // L -> Reg lro=24 swapByteOffset=0 ti=16 vIdx=0 rIdx=0 oIdx=0 buffer=6 iui=0
_ds_load_b64 v[vgprValuB_X6_I0+2:vgprValuB_X6_I0+2+1], v[vgprLocalReadAddrB] offset:4416 // L -> Reg lro=24 swapByteOffset=0 ti=16 vIdx=1 rIdx=0 oIdx=0 buffer=6 iui=0
v_mfma_f32_16x16x4_f32 v[12+0:15+0], v[vgprValuB_X0_I0+6+0+0+1], v151, v[12:15]
 // Cr += -Ai*Bi
/*  mfmaIndex:15  */
/* localReadsVacancy: latencyLeft 5 */
_ds_load_b64 v[vgprValuB_X6_I0+4:vgprValuB_X6_I0+4+1], v[vgprLocalReadAddrB] offset:8640 // L -> Reg lro=24 swapByteOffset=0 ti=16 vIdx=2 rIdx=0 oIdx=0 buffer=6 iui=0
_ds_load_b64 v[vgprValuB_X6_I0+6:vgprValuB_X6_I0+6+1], v[vgprLocalReadAddrB] offset:12864 // L -> Reg lro=24 swapByteOffset=0 ti=16 vIdx=3 rIdx=0 oIdx=0 buffer=6 iui=0
v_mfma_f32_16x16x4_f32 v[28+0:31+0], v[vgprValuB_X0_I0+6+0+0+1], v[vgprValuA_X0_I0+0+0+0], v[28:31]
 // Ci += Ar*Bi
/* numPrefetchIter=0 */
/* dataAtIterA=-1 numReadsIterA=1 skipReadsIterA=1 readsPerIterA=1 */
/* dataAtIterB=-1 numReadsIterB=1 skipReadsIterB=1 readsPerIterB=4 */


/* iter 1 (last unrolled loop) */

/*  grEndMfmaIndex:0, lwStartMfmaIndex:120, lwEndMfmaIndex:120  */
/*  numMfmaForLR:5, barrierMfmaIndex:122, LocalWritePerMfma:0.115 */
/*  mfmaIndex:16  */
/* localReadsVacancy: latencyLeft 5 */
_ds_load_b64 v[vgprValuA_X7_I0+0:vgprValuA_X7_I0+0+1], v[vgprLocalReadAddrA] offset:14336 // L -> Reg lro=1792 swapByteOffset=0 ti=64 vIdx=0 rIdx=0 oIdx=0 buffer=7 iui=0
_ds_load_b64 v[vgprValuB_X7_I0+0:vgprValuB_X7_I0+0+1], v[vgprLocalReadAddrB] offset:224 // L -> Reg lro=28 swapByteOffset=0 ti=16 vIdx=0 rIdx=0 oIdx=0 buffer=7 iui=0
s_waitcnt lgkmcnt(15)                              // lgkmcnt=0 vmcnt=-1wait for prior local read local write old=5, new=5 newLW=0 newLR=0
v_add_f32 v151, -v[vgprValuA_X1_I0+0+0+0+1], 0     // Ai=-Ai
v_mfma_f32_16x16x4_f32 v[0+0:3+0], v[vgprValuB_X1_I0+0+0+0], v[vgprValuA_X1_I0+0+0+0], v[0:3]
 // Cr += Ar*Br
/*  mfmaIndex:17  */
/* localReadsVacancy: latencyLeft 5 */
_ds_load_b64 v[vgprValuB_X7_I0+2:vgprValuB_X7_I0+2+1], v[vgprLocalReadAddrB] offset:4448 // L -> Reg lro=28 swapByteOffset=0 ti=16 vIdx=1 rIdx=0 oIdx=0 buffer=7 iui=0
_ds_load_b64 v[vgprValuB_X7_I0+4:vgprValuB_X7_I0+4+1], v[vgprLocalReadAddrB] offset:8672 // L -> Reg lro=28 swapByteOffset=0 ti=16 vIdx=2 rIdx=0 oIdx=0 buffer=7 iui=0
v_mfma_f32_16x16x4_f32 v[16+0:19+0], v[vgprValuB_X1_I0+0+0+0], v[vgprValuA_X1_I0+0+0+0+1], v[16:19]
 // Ci += Ai*Br
/*  mfmaIndex:18  */
/* localReadsVacancy: latencyLeft 5 */
_ds_load_b64 v[vgprValuB_X7_I0+6:vgprValuB_X7_I0+6+1], v[vgprLocalReadAddrB] offset:12896 // L -> Reg lro=28 swapByteOffset=0 ti=16 vIdx=3 rIdx=0 oIdx=0 buffer=7 iui=0
v_mfma_f32_16x16x4_f32 v[0+0:3+0], v[vgprValuB_X1_I0+0+0+0+1], v151, v[0:3]
 // Cr += -Ai*Bi
/*  mfmaIndex:19  */
/* localReadsVacancy: latencyLeft 5 */
v_mfma_f32_16x16x4_f32 v[16+0:19+0], v[vgprValuB_X1_I0+0+0+0+1], v[vgprValuA_X1_I0+0+0+0], v[16:19]
 // Ci += Ar*Bi
/*  mfmaIndex:20  */
/* localReadsVacancy: latencyLeft 5 */
v_mfma_f32_16x16x4_f32 v[4+0:7+0], v[vgprValuB_X1_I0+2+0+0], v[vgprValuA_X1_I0+0+0+0], v[4:7]
 // Cr += Ar*Br
/*  mfmaIndex:21  */
/* localReadsVacancy: latencyLeft 5 */
v_mfma_f32_16x16x4_f32 v[20+0:23+0], v[vgprValuB_X1_I0+2+0+0], v[vgprValuA_X1_I0+0+0+0+1], v[20:23]
 // Ci += Ai*Br
/*  mfmaIndex:22  */
/* localReadsVacancy: latencyLeft 5 */
v_mfma_f32_16x16x4_f32 v[4+0:7+0], v[vgprValuB_X1_I0+2+0+0+1], v151, v[4:7]
 // Cr += -Ai*Bi
/*  mfmaIndex:23  */
/* localReadsVacancy: latencyLeft 5 */
v_mfma_f32_16x16x4_f32 v[20+0:23+0], v[vgprValuB_X1_I0+2+0+0+1], v[vgprValuA_X1_I0+0+0+0], v[20:23]
 // Ci += Ar*Bi
/*  mfmaIndex:24  */
/* localReadsVacancy: latencyLeft 5 */
v_mfma_f32_16x16x4_f32 v[8+0:11+0], v[vgprValuB_X1_I0+4+0+0], v[vgprValuA_X1_I0+0+0+0], v[8:11]
 // Cr += Ar*Br
/*  mfmaIndex:25  */
/* localReadsVacancy: latencyLeft 5 */
v_mfma_f32_16x16x4_f32 v[24+0:27+0], v[vgprValuB_X1_I0+4+0+0], v[vgprValuA_X1_I0+0+0+0+1], v[24:27]
 // Ci += Ai*Br
/*  mfmaIndex:26  */
/* localReadsVacancy: latencyLeft 5 */
	;; [unrolled: 16-line block ×3, first 2 shown]
v_mfma_f32_16x16x4_f32 v[12+0:15+0], v[vgprValuB_X1_I0+6+0+0+1], v151, v[12:15]
 // Cr += -Ai*Bi
/*  mfmaIndex:31  */
/* localReadsVacancy: latencyLeft 5 */
v_mfma_f32_16x16x4_f32 v[28+0:31+0], v[vgprValuB_X1_I0+6+0+0+1], v[vgprValuA_X1_I0+0+0+0], v[28:31]
 // Ci += Ar*Bi
/* numPrefetchIter=0 */
/* dataAtIterA=0 numReadsIterA=2 skipReadsIterA=1 readsPerIterA=1 */
/* dataAtIterB=0 numReadsIterB=2 skipReadsIterB=1 readsPerIterB=4 */


/* iter 2 (last unrolled loop) */

/*  grEndMfmaIndex:0, lwStartMfmaIndex:120, lwEndMfmaIndex:120  */
/*  numMfmaForLR:5, barrierMfmaIndex:122, LocalWritePerMfma:0.115 */
/*  mfmaIndex:32  */
/* localReadsVacancy: latencyLeft 5 */
s_waitcnt lgkmcnt(5)                               // lgkmcnt=0 vmcnt=-1wait for prior local read local write old=0, new=0 newLW=0 newLR=0
v_add_f32 v151, -v[vgprValuA_X2_I0+0+0+0+1], 0     // Ai=-Ai
v_mfma_f32_16x16x4_f32 v[0+0:3+0], v[vgprValuB_X2_I0+0+0+0], v[vgprValuA_X2_I0+0+0+0], v[0:3]
 // Cr += Ar*Br
/*  mfmaIndex:33  */
/* localReadsVacancy: latencyLeft 5 */
v_mfma_f32_16x16x4_f32 v[16+0:19+0], v[vgprValuB_X2_I0+0+0+0], v[vgprValuA_X2_I0+0+0+0+1], v[16:19]
 // Ci += Ai*Br
/*  mfmaIndex:34  */
/* localReadsVacancy: latencyLeft 5 */
v_mfma_f32_16x16x4_f32 v[0+0:3+0], v[vgprValuB_X2_I0+0+0+0+1], v151, v[0:3]
 // Cr += -Ai*Bi
/*  mfmaIndex:35  */
/* localReadsVacancy: latencyLeft 5 */
v_mfma_f32_16x16x4_f32 v[16+0:19+0], v[vgprValuB_X2_I0+0+0+0+1], v[vgprValuA_X2_I0+0+0+0], v[16:19]
 // Ci += Ar*Bi
/*  mfmaIndex:36  */
/* localReadsVacancy: latencyLeft 5 */
v_mfma_f32_16x16x4_f32 v[4+0:7+0], v[vgprValuB_X2_I0+2+0+0], v[vgprValuA_X2_I0+0+0+0], v[4:7]
 // Cr += Ar*Br
/*  mfmaIndex:37  */
/* localReadsVacancy: latencyLeft 5 */
v_mfma_f32_16x16x4_f32 v[20+0:23+0], v[vgprValuB_X2_I0+2+0+0], v[vgprValuA_X2_I0+0+0+0+1], v[20:23]
 // Ci += Ai*Br
/*  mfmaIndex:38  */
/* localReadsVacancy: latencyLeft 5 */
v_mfma_f32_16x16x4_f32 v[4+0:7+0], v[vgprValuB_X2_I0+2+0+0+1], v151, v[4:7]
 // Cr += -Ai*Bi
/*  mfmaIndex:39  */
/* localReadsVacancy: latencyLeft 5 */
v_mfma_f32_16x16x4_f32 v[20+0:23+0], v[vgprValuB_X2_I0+2+0+0+1], v[vgprValuA_X2_I0+0+0+0], v[20:23]
 // Ci += Ar*Bi
/*  mfmaIndex:40  */
/* localReadsVacancy: latencyLeft 5 */
	;; [unrolled: 16-line block ×3, first 2 shown]
v_mfma_f32_16x16x4_f32 v[12+0:15+0], v[vgprValuB_X2_I0+6+0+0], v[vgprValuA_X2_I0+0+0+0], v[12:15]
 // Cr += Ar*Br
/*  mfmaIndex:45  */
/* localReadsVacancy: latencyLeft 5 */
v_mfma_f32_16x16x4_f32 v[28+0:31+0], v[vgprValuB_X2_I0+6+0+0], v[vgprValuA_X2_I0+0+0+0+1], v[28:31]
 // Ci += Ai*Br
/*  mfmaIndex:46  */
/* localReadsVacancy: latencyLeft 5 */
v_mfma_f32_16x16x4_f32 v[12+0:15+0], v[vgprValuB_X2_I0+6+0+0+1], v151, v[12:15]
 // Cr += -Ai*Bi
/*  mfmaIndex:47  */
/* localReadsVacancy: latencyLeft 5 */
v_mfma_f32_16x16x4_f32 v[28+0:31+0], v[vgprValuB_X2_I0+6+0+0+1], v[vgprValuA_X2_I0+0+0+0], v[28:31]
 // Ci += Ar*Bi
/* numPrefetchIter=0 */
/* dataAtIterA=1 numReadsIterA=3 skipReadsIterA=1 readsPerIterA=1 */
/* dataAtIterB=1 numReadsIterB=3 skipReadsIterB=1 readsPerIterB=4 */


/* iter 3 (last unrolled loop) */

/*  grEndMfmaIndex:0, lwStartMfmaIndex:120, lwEndMfmaIndex:120  */
/*  numMfmaForLR:5, barrierMfmaIndex:122, LocalWritePerMfma:0.115 */
/*  mfmaIndex:48  */
/* localReadsVacancy: latencyLeft 5 */
s_waitcnt lgkmcnt(5)                               // lgkmcnt=0 vmcnt=-1wait for prior local read local write old=0, new=0 newLW=0 newLR=0
v_add_f32 v151, -v[vgprValuA_X3_I0+0+0+0+1], 0     // Ai=-Ai
v_mfma_f32_16x16x4_f32 v[0+0:3+0], v[vgprValuB_X3_I0+0+0+0], v[vgprValuA_X3_I0+0+0+0], v[0:3]
 // Cr += Ar*Br
/*  mfmaIndex:49  */
/* localReadsVacancy: latencyLeft 5 */
v_mfma_f32_16x16x4_f32 v[16+0:19+0], v[vgprValuB_X3_I0+0+0+0], v[vgprValuA_X3_I0+0+0+0+1], v[16:19]
 // Ci += Ai*Br
/*  mfmaIndex:50  */
/* localReadsVacancy: latencyLeft 5 */
v_mfma_f32_16x16x4_f32 v[0+0:3+0], v[vgprValuB_X3_I0+0+0+0+1], v151, v[0:3]
 // Cr += -Ai*Bi
/*  mfmaIndex:51  */
/* localReadsVacancy: latencyLeft 5 */
v_mfma_f32_16x16x4_f32 v[16+0:19+0], v[vgprValuB_X3_I0+0+0+0+1], v[vgprValuA_X3_I0+0+0+0], v[16:19]
 // Ci += Ar*Bi
/*  mfmaIndex:52  */
/* localReadsVacancy: latencyLeft 5 */
v_mfma_f32_16x16x4_f32 v[4+0:7+0], v[vgprValuB_X3_I0+2+0+0], v[vgprValuA_X3_I0+0+0+0], v[4:7]
 // Cr += Ar*Br
/*  mfmaIndex:53  */
/* localReadsVacancy: latencyLeft 5 */
v_mfma_f32_16x16x4_f32 v[20+0:23+0], v[vgprValuB_X3_I0+2+0+0], v[vgprValuA_X3_I0+0+0+0+1], v[20:23]
 // Ci += Ai*Br
/*  mfmaIndex:54  */
/* localReadsVacancy: latencyLeft 5 */
v_mfma_f32_16x16x4_f32 v[4+0:7+0], v[vgprValuB_X3_I0+2+0+0+1], v151, v[4:7]
 // Cr += -Ai*Bi
/*  mfmaIndex:55  */
/* localReadsVacancy: latencyLeft 5 */
v_mfma_f32_16x16x4_f32 v[20+0:23+0], v[vgprValuB_X3_I0+2+0+0+1], v[vgprValuA_X3_I0+0+0+0], v[20:23]
 // Ci += Ar*Bi
/*  mfmaIndex:56  */
/* localReadsVacancy: latencyLeft 5 */
	;; [unrolled: 16-line block ×3, first 2 shown]
v_mfma_f32_16x16x4_f32 v[12+0:15+0], v[vgprValuB_X3_I0+6+0+0], v[vgprValuA_X3_I0+0+0+0], v[12:15]
 // Cr += Ar*Br
/*  mfmaIndex:61  */
/* localReadsVacancy: latencyLeft 5 */
v_mfma_f32_16x16x4_f32 v[28+0:31+0], v[vgprValuB_X3_I0+6+0+0], v[vgprValuA_X3_I0+0+0+0+1], v[28:31]
 // Ci += Ai*Br
/*  mfmaIndex:62  */
/* localReadsVacancy: latencyLeft 5 */
v_mfma_f32_16x16x4_f32 v[12+0:15+0], v[vgprValuB_X3_I0+6+0+0+1], v151, v[12:15]
 // Cr += -Ai*Bi
/*  mfmaIndex:63  */
/* localReadsVacancy: latencyLeft 5 */
v_mfma_f32_16x16x4_f32 v[28+0:31+0], v[vgprValuB_X3_I0+6+0+0+1], v[vgprValuA_X3_I0+0+0+0], v[28:31]
 // Ci += Ar*Bi
/* numPrefetchIter=0 */
/* dataAtIterA=2 numReadsIterA=4 skipReadsIterA=1 readsPerIterA=1 */
/* dataAtIterB=2 numReadsIterB=4 skipReadsIterB=1 readsPerIterB=4 */


/* iter 4 (last unrolled loop) */

/*  grEndMfmaIndex:0, lwStartMfmaIndex:120, lwEndMfmaIndex:120  */
/*  numMfmaForLR:5, barrierMfmaIndex:122, LocalWritePerMfma:0.115 */
/*  mfmaIndex:64  */
/* localReadsVacancy: latencyLeft 5 */
s_waitcnt lgkmcnt(5)                               // lgkmcnt=0 vmcnt=-1wait for prior local read local write old=0, new=0 newLW=0 newLR=0
v_add_f32 v151, -v[vgprValuA_X4_I0+0+0+0+1], 0     // Ai=-Ai
v_mfma_f32_16x16x4_f32 v[0+0:3+0], v[vgprValuB_X4_I0+0+0+0], v[vgprValuA_X4_I0+0+0+0], v[0:3]
 // Cr += Ar*Br
/*  mfmaIndex:65  */
/* localReadsVacancy: latencyLeft 5 */
v_mfma_f32_16x16x4_f32 v[16+0:19+0], v[vgprValuB_X4_I0+0+0+0], v[vgprValuA_X4_I0+0+0+0+1], v[16:19]
 // Ci += Ai*Br
/*  mfmaIndex:66  */
/* localReadsVacancy: latencyLeft 5 */
v_mfma_f32_16x16x4_f32 v[0+0:3+0], v[vgprValuB_X4_I0+0+0+0+1], v151, v[0:3]
 // Cr += -Ai*Bi
/*  mfmaIndex:67  */
/* localReadsVacancy: latencyLeft 5 */
v_mfma_f32_16x16x4_f32 v[16+0:19+0], v[vgprValuB_X4_I0+0+0+0+1], v[vgprValuA_X4_I0+0+0+0], v[16:19]
 // Ci += Ar*Bi
/*  mfmaIndex:68  */
/* localReadsVacancy: latencyLeft 5 */
v_mfma_f32_16x16x4_f32 v[4+0:7+0], v[vgprValuB_X4_I0+2+0+0], v[vgprValuA_X4_I0+0+0+0], v[4:7]
 // Cr += Ar*Br
/*  mfmaIndex:69  */
/* localReadsVacancy: latencyLeft 5 */
v_mfma_f32_16x16x4_f32 v[20+0:23+0], v[vgprValuB_X4_I0+2+0+0], v[vgprValuA_X4_I0+0+0+0+1], v[20:23]
 // Ci += Ai*Br
/*  mfmaIndex:70  */
/* localReadsVacancy: latencyLeft 5 */
v_mfma_f32_16x16x4_f32 v[4+0:7+0], v[vgprValuB_X4_I0+2+0+0+1], v151, v[4:7]
 // Cr += -Ai*Bi
/*  mfmaIndex:71  */
/* localReadsVacancy: latencyLeft 5 */
v_mfma_f32_16x16x4_f32 v[20+0:23+0], v[vgprValuB_X4_I0+2+0+0+1], v[vgprValuA_X4_I0+0+0+0], v[20:23]
 // Ci += Ar*Bi
/*  mfmaIndex:72  */
/* localReadsVacancy: latencyLeft 5 */
	;; [unrolled: 16-line block ×3, first 2 shown]
v_mfma_f32_16x16x4_f32 v[12+0:15+0], v[vgprValuB_X4_I0+6+0+0], v[vgprValuA_X4_I0+0+0+0], v[12:15]
 // Cr += Ar*Br
/*  mfmaIndex:77  */
/* localReadsVacancy: latencyLeft 5 */
v_mfma_f32_16x16x4_f32 v[28+0:31+0], v[vgprValuB_X4_I0+6+0+0], v[vgprValuA_X4_I0+0+0+0+1], v[28:31]
 // Ci += Ai*Br
/*  mfmaIndex:78  */
/* localReadsVacancy: latencyLeft 5 */
v_mfma_f32_16x16x4_f32 v[12+0:15+0], v[vgprValuB_X4_I0+6+0+0+1], v151, v[12:15]
 // Cr += -Ai*Bi
/*  mfmaIndex:79  */
/* localReadsVacancy: latencyLeft 5 */
v_mfma_f32_16x16x4_f32 v[28+0:31+0], v[vgprValuB_X4_I0+6+0+0+1], v[vgprValuA_X4_I0+0+0+0], v[28:31]
 // Ci += Ar*Bi
/* numPrefetchIter=0 */
/* dataAtIterA=3 numReadsIterA=5 skipReadsIterA=1 readsPerIterA=1 */
/* dataAtIterB=3 numReadsIterB=5 skipReadsIterB=1 readsPerIterB=4 */


/* iter 5 (last unrolled loop) */

/*  grEndMfmaIndex:0, lwStartMfmaIndex:120, lwEndMfmaIndex:120  */
/*  numMfmaForLR:5, barrierMfmaIndex:122, LocalWritePerMfma:0.115 */
/*  mfmaIndex:80  */
/* localReadsVacancy: latencyLeft 5 */
s_waitcnt lgkmcnt(5)                               // lgkmcnt=0 vmcnt=-1wait for prior local read local write old=0, new=0 newLW=0 newLR=0
v_add_f32 v151, -v[vgprValuA_X5_I0+0+0+0+1], 0     // Ai=-Ai
v_mfma_f32_16x16x4_f32 v[0+0:3+0], v[vgprValuB_X5_I0+0+0+0], v[vgprValuA_X5_I0+0+0+0], v[0:3]
 // Cr += Ar*Br
/*  mfmaIndex:81  */
/* localReadsVacancy: latencyLeft 5 */
v_mfma_f32_16x16x4_f32 v[16+0:19+0], v[vgprValuB_X5_I0+0+0+0], v[vgprValuA_X5_I0+0+0+0+1], v[16:19]
 // Ci += Ai*Br
/*  mfmaIndex:82  */
/* localReadsVacancy: latencyLeft 5 */
v_mfma_f32_16x16x4_f32 v[0+0:3+0], v[vgprValuB_X5_I0+0+0+0+1], v151, v[0:3]
 // Cr += -Ai*Bi
/*  mfmaIndex:83  */
/* localReadsVacancy: latencyLeft 5 */
v_mfma_f32_16x16x4_f32 v[16+0:19+0], v[vgprValuB_X5_I0+0+0+0+1], v[vgprValuA_X5_I0+0+0+0], v[16:19]
 // Ci += Ar*Bi
/*  mfmaIndex:84  */
/* localReadsVacancy: latencyLeft 5 */
v_mfma_f32_16x16x4_f32 v[4+0:7+0], v[vgprValuB_X5_I0+2+0+0], v[vgprValuA_X5_I0+0+0+0], v[4:7]
 // Cr += Ar*Br
/*  mfmaIndex:85  */
/* localReadsVacancy: latencyLeft 5 */
v_mfma_f32_16x16x4_f32 v[20+0:23+0], v[vgprValuB_X5_I0+2+0+0], v[vgprValuA_X5_I0+0+0+0+1], v[20:23]
 // Ci += Ai*Br
/*  mfmaIndex:86  */
/* localReadsVacancy: latencyLeft 5 */
v_mfma_f32_16x16x4_f32 v[4+0:7+0], v[vgprValuB_X5_I0+2+0+0+1], v151, v[4:7]
 // Cr += -Ai*Bi
/*  mfmaIndex:87  */
/* localReadsVacancy: latencyLeft 5 */
v_mfma_f32_16x16x4_f32 v[20+0:23+0], v[vgprValuB_X5_I0+2+0+0+1], v[vgprValuA_X5_I0+0+0+0], v[20:23]
 // Ci += Ar*Bi
/*  mfmaIndex:88  */
/* localReadsVacancy: latencyLeft 5 */
	;; [unrolled: 16-line block ×3, first 2 shown]
v_mfma_f32_16x16x4_f32 v[12+0:15+0], v[vgprValuB_X5_I0+6+0+0], v[vgprValuA_X5_I0+0+0+0], v[12:15]
 // Cr += Ar*Br
/*  mfmaIndex:93  */
/* localReadsVacancy: latencyLeft 5 */
v_mfma_f32_16x16x4_f32 v[28+0:31+0], v[vgprValuB_X5_I0+6+0+0], v[vgprValuA_X5_I0+0+0+0+1], v[28:31]
 // Ci += Ai*Br
/*  mfmaIndex:94  */
/* localReadsVacancy: latencyLeft 5 */
v_mfma_f32_16x16x4_f32 v[12+0:15+0], v[vgprValuB_X5_I0+6+0+0+1], v151, v[12:15]
 // Cr += -Ai*Bi
/*  mfmaIndex:95  */
/* localReadsVacancy: latencyLeft 5 */
v_mfma_f32_16x16x4_f32 v[28+0:31+0], v[vgprValuB_X5_I0+6+0+0+1], v[vgprValuA_X5_I0+0+0+0], v[28:31]
 // Ci += Ar*Bi
/* numPrefetchIter=0 */
/* dataAtIterA=4 numReadsIterA=6 skipReadsIterA=1 readsPerIterA=1 */
/* dataAtIterB=4 numReadsIterB=6 skipReadsIterB=1 readsPerIterB=4 */


/* iter 6 (last unrolled loop) */

/*  grEndMfmaIndex:0, lwStartMfmaIndex:120, lwEndMfmaIndex:120  */
/*  numMfmaForLR:5, barrierMfmaIndex:122, LocalWritePerMfma:0.115 */
/*  mfmaIndex:96  */
/* localReadsVacancy: latencyLeft 5 */
s_waitcnt lgkmcnt(5)                               // lgkmcnt=0 vmcnt=-1wait for prior local read local write old=5, new=5 newLW=0 newLR=0
v_add_f32 v151, -v[vgprValuA_X6_I0+0+0+0+1], 0     // Ai=-Ai
v_mfma_f32_16x16x4_f32 v[0+0:3+0], v[vgprValuB_X6_I0+0+0+0], v[vgprValuA_X6_I0+0+0+0], v[0:3]
 // Cr += Ar*Br
/*  mfmaIndex:97  */
/* localReadsVacancy: latencyLeft 5 */
v_mfma_f32_16x16x4_f32 v[16+0:19+0], v[vgprValuB_X6_I0+0+0+0], v[vgprValuA_X6_I0+0+0+0+1], v[16:19]
 // Ci += Ai*Br
/*  mfmaIndex:98  */
/* localReadsVacancy: latencyLeft 5 */
v_mfma_f32_16x16x4_f32 v[0+0:3+0], v[vgprValuB_X6_I0+0+0+0+1], v151, v[0:3]
 // Cr += -Ai*Bi
/*  mfmaIndex:99  */
/* localReadsVacancy: latencyLeft 5 */
v_mfma_f32_16x16x4_f32 v[16+0:19+0], v[vgprValuB_X6_I0+0+0+0+1], v[vgprValuA_X6_I0+0+0+0], v[16:19]
 // Ci += Ar*Bi
/*  mfmaIndex:100  */
/* localReadsVacancy: latencyLeft 5 */
v_mfma_f32_16x16x4_f32 v[4+0:7+0], v[vgprValuB_X6_I0+2+0+0], v[vgprValuA_X6_I0+0+0+0], v[4:7]
 // Cr += Ar*Br
/*  mfmaIndex:101  */
/* localReadsVacancy: latencyLeft 5 */
v_mfma_f32_16x16x4_f32 v[20+0:23+0], v[vgprValuB_X6_I0+2+0+0], v[vgprValuA_X6_I0+0+0+0+1], v[20:23]
 // Ci += Ai*Br
/*  mfmaIndex:102  */
/* localReadsVacancy: latencyLeft 5 */
v_mfma_f32_16x16x4_f32 v[4+0:7+0], v[vgprValuB_X6_I0+2+0+0+1], v151, v[4:7]
 // Cr += -Ai*Bi
/*  mfmaIndex:103  */
/* localReadsVacancy: latencyLeft 5 */
v_mfma_f32_16x16x4_f32 v[20+0:23+0], v[vgprValuB_X6_I0+2+0+0+1], v[vgprValuA_X6_I0+0+0+0], v[20:23]
 // Ci += Ar*Bi
/*  mfmaIndex:104  */
/* localReadsVacancy: latencyLeft 5 */
	;; [unrolled: 16-line block ×3, first 2 shown]
v_mfma_f32_16x16x4_f32 v[12+0:15+0], v[vgprValuB_X6_I0+6+0+0], v[vgprValuA_X6_I0+0+0+0], v[12:15]
 // Cr += Ar*Br
/*  mfmaIndex:109  */
/* localReadsVacancy: latencyLeft 5 */
v_mfma_f32_16x16x4_f32 v[28+0:31+0], v[vgprValuB_X6_I0+6+0+0], v[vgprValuA_X6_I0+0+0+0+1], v[28:31]
 // Ci += Ai*Br
/*  mfmaIndex:110  */
/* localReadsVacancy: latencyLeft 5 */
v_mfma_f32_16x16x4_f32 v[12+0:15+0], v[vgprValuB_X6_I0+6+0+0+1], v151, v[12:15]
 // Cr += -Ai*Bi
/*  mfmaIndex:111  */
/* localReadsVacancy: latencyLeft 5 */
v_mfma_f32_16x16x4_f32 v[28+0:31+0], v[vgprValuB_X6_I0+6+0+0+1], v[vgprValuA_X6_I0+0+0+0], v[28:31]
 // Ci += Ar*Bi
/* numPrefetchIter=0 */
/* dataAtIterA=5 numReadsIterA=7 skipReadsIterA=1 readsPerIterA=1 */
/* dataAtIterB=5 numReadsIterB=7 skipReadsIterB=1 readsPerIterB=4 */


/* iter 7 (last unrolled loop) */

/*  grEndMfmaIndex:0, lwStartMfmaIndex:120, lwEndMfmaIndex:120  */
/*  numMfmaForLR:5, barrierMfmaIndex:122, LocalWritePerMfma:0.115 */
/*  mfmaIndex:112  */
s_waitcnt lgkmcnt(0)                               // lgkmcnt=0 vmcnt=-1wait for prior local read local write old=0, new=0 newLW=0 newLR=0
v_add_f32 v151, -v[vgprValuA_X7_I0+0+0+0+1], 0     // Ai=-Ai
v_mfma_f32_16x16x4_f32 v[0+0:3+0], v[vgprValuB_X7_I0+0+0+0], v[vgprValuA_X7_I0+0+0+0], v[0:3]
 // Cr += Ar*Br
/*  mfmaIndex:113  */
v_mfma_f32_16x16x4_f32 v[16+0:19+0], v[vgprValuB_X7_I0+0+0+0], v[vgprValuA_X7_I0+0+0+0+1], v[16:19]
 // Ci += Ai*Br
/*  mfmaIndex:114  */
v_mfma_f32_16x16x4_f32 v[0+0:3+0], v[vgprValuB_X7_I0+0+0+0+1], v151, v[0:3]
 // Cr += -Ai*Bi
/*  mfmaIndex:115  */
v_mfma_f32_16x16x4_f32 v[16+0:19+0], v[vgprValuB_X7_I0+0+0+0+1], v[vgprValuA_X7_I0+0+0+0], v[16:19]
 // Ci += Ar*Bi
/*  mfmaIndex:116  */
v_mfma_f32_16x16x4_f32 v[4+0:7+0], v[vgprValuB_X7_I0+2+0+0], v[vgprValuA_X7_I0+0+0+0], v[4:7]
 // Cr += Ar*Br
/*  mfmaIndex:117  */
v_mfma_f32_16x16x4_f32 v[20+0:23+0], v[vgprValuB_X7_I0+2+0+0], v[vgprValuA_X7_I0+0+0+0+1], v[20:23]
 // Ci += Ai*Br
/*  mfmaIndex:118  */
v_mfma_f32_16x16x4_f32 v[4+0:7+0], v[vgprValuB_X7_I0+2+0+0+1], v151, v[4:7]
 // Cr += -Ai*Bi
/*  mfmaIndex:119  */
/* 1 LDS buffer: read-sync-write */
s_waitcnt lgkmcnt(0)                               // 
s_barrier                                          // 
v_mfma_f32_16x16x4_f32 v[20+0:23+0], v[vgprValuB_X7_I0+2+0+0+1], v[vgprValuA_X7_I0+0+0+0], v[20:23]
 // Ci += Ar*Bi
/*  mfmaIndex:120  */
v_mfma_f32_16x16x4_f32 v[8+0:11+0], v[vgprValuB_X7_I0+4+0+0], v[vgprValuA_X7_I0+0+0+0], v[8:11]
 // Cr += Ar*Br
/*  mfmaIndex:121  */
v_mfma_f32_16x16x4_f32 v[24+0:27+0], v[vgprValuB_X7_I0+4+0+0], v[vgprValuA_X7_I0+0+0+0+1], v[24:27]
 // Ci += Ai*Br
/*  mfmaIndex:122  */
v_mfma_f32_16x16x4_f32 v[8+0:11+0], v[vgprValuB_X7_I0+4+0+0+1], v151, v[8:11]
 // Cr += -Ai*Bi
/*  mfmaIndex:123  */
v_mfma_f32_16x16x4_f32 v[24+0:27+0], v[vgprValuB_X7_I0+4+0+0+1], v[vgprValuA_X7_I0+0+0+0], v[24:27]
 // Ci += Ar*Bi
/*  mfmaIndex:124  */
v_mfma_f32_16x16x4_f32 v[12+0:15+0], v[vgprValuB_X7_I0+6+0+0], v[vgprValuA_X7_I0+0+0+0], v[12:15]
 // Cr += Ar*Br
/*  mfmaIndex:125  */
v_mfma_f32_16x16x4_f32 v[28+0:31+0], v[vgprValuB_X7_I0+6+0+0], v[vgprValuA_X7_I0+0+0+0+1], v[28:31]
 // Ci += Ai*Br
/*  mfmaIndex:126  */
v_mfma_f32_16x16x4_f32 v[12+0:15+0], v[vgprValuB_X7_I0+6+0+0+1], v151, v[12:15]
 // Cr += -Ai*Bi
/*  mfmaIndex:127  */
v_mfma_f32_16x16x4_f32 v[28+0:31+0], v[vgprValuB_X7_I0+6+0+0+1], v[vgprValuA_X7_I0+0+0+0], v[28:31]
 // Ci += Ar*Bi
/* numPrefetchIter=0 */
/* dataAtIterA=6 numReadsIterA=7 skipReadsIterA=0 readsPerIterA=1 */
/* dataAtIterB=6 numReadsIterB=7 skipReadsIterB=0 readsPerIterB=4 */

PrefetchGlobalLastIterEnd_5:


/******************************************/
/* Tail Loop                              */
/******************************************/


/* local write reset offsets a */




/* local write reset offsets b */


	;; [unrolled: 1-line block ×4, first 2 shown]
//numIterL = (((sizeL % LOCAL_DEPTHU) + LOCAL_SPLITU - 1) / LOCAL_SPLITU)
s_and_b32 s[sgprLoopCounterL], 31, s[sgprSizesSum+0] // s[sgprLoopCounterL] = s[sgprSizesSum+0] % 32
s_cmp_eq_u32 s[sgprLoopCounterL], 0x0              // numIterL == 0
s_cbranch_scc1 SkipTailLoopL_8                     // skip to end of tail loop b/c numIter==0
s_mov_b32 s[sgprOrigLoopCounter], 0                // repurpose to count each localRead increment


/* Update M0 for DTLDS */


	;; [unrolled: 1-line block ×3, first 2 shown]
/* global read a */

/* g2l=0, load component 0 */
_buffer_load_b64 v[vgprG2LA+0+0:vgprG2LA+0+0+1], v[vgprGlobalReadOffsetA+0], s[sgprSrdA:sgprSrdA+3], 0, offen offset:0 // load one buffer value
/* g2l=0, load component 1 */
_buffer_load_b64 v[vgprG2LA+0+2:vgprG2LA+0+2+1], v[vgprGlobalReadOffsetA+0], s[sgprSrdA:sgprSrdA+3], 0, offen offset:8 // load one buffer value
/* g2l=4, load component 0 */
_buffer_load_b64 v[vgprG2LA+4+0:vgprG2LA+4+0+1], v[vgprGlobalReadOffsetA+0], s[sgprSrdA:sgprSrdA+3], s[sgprScalarGlobalReadOffsetA+0], offen offset:0 // load one buffer value
/* g2l=4, load component 1 */
_buffer_load_b64 v[vgprG2LA+4+2:vgprG2LA+4+2+1], v[vgprGlobalReadOffsetA+0], s[sgprSrdA:sgprSrdA+3], s[sgprScalarGlobalReadOffsetA+0], offen offset:8 // load one buffer value
	;; [unrolled: 2-line block ×6, first 2 shown]


/* Update M0 for DTLDS */


	;; [unrolled: 1-line block ×3, first 2 shown]
/* global read b */

/* g2l=0, load component 0 */
_buffer_load_b64 v[vgprG2LB+0+0:vgprG2LB+0+0+1], v[vgprGlobalReadOffsetB+0], s[sgprSrdB:sgprSrdB+3], 0, offen offset:0 // load one buffer value
/* g2l=2, load component 0 */
_buffer_load_b64 v[vgprG2LB+2+0:vgprG2LB+2+0+1], v[vgprGlobalReadOffsetB+0], s[sgprSrdB:sgprSrdB+3], s[sgprScalarGlobalReadOffsetB+0], offen offset:0 // load one buffer value
/* g2l=4, load component 0 */
_buffer_load_b64 v[vgprG2LB+4+0:vgprG2LB+4+0+1], v[vgprGlobalReadOffsetB+0], s[sgprSrdB:sgprSrdB+3], s[sgprScalarGlobalReadOffsetB+1], offen offset:0 // load one buffer value
	;; [unrolled: 2-line block ×7, first 2 shown]

s_waitcnt vmcnt(0)                                 // lgkmcnt=-1 vmcnt=02wait for global read

// Skip force waitcnt0
s_barrier //


/* Done global A/B reads */


	;; [unrolled: 1-line block ×4, first 2 shown]
/* local write a */

_ds_store_b128 v[vgprLocalWriteAddrA], v[vgprG2LA+0:vgprG2LA+0+3] offset:0 // lwoA_0_0_0_0 = (0*LSCA) + (0*LSPA)(*MT0I+PAD) = 0
_ds_store_b128 v[vgprLocalWriteAddrA], v[vgprG2LA+4:vgprG2LA+4+3] offset:4096 // lwoA_0_0_1_0 = (0*LSCA) + (1*LSPA)(*MT0I+PAD) = 4096
_ds_store_b128 v[vgprLocalWriteAddrA], v[vgprG2LA+8:vgprG2LA+8+3] offset:8192 // lwoA_0_0_2_0 = (0*LSCA) + (2*LSPA)(*MT0I+PAD) = 8192
_ds_store_b128 v[vgprLocalWriteAddrA], v[vgprG2LA+12:vgprG2LA+12+3] offset:12288 // lwoA_0_0_3_0 = (0*LSCA) + (3*LSPA)(*MT0I+PAD) = 12288


/* local write b */

_ds_store_b64 v[vgprLocalWriteAddrB], v[vgprG2LB+0:vgprG2LB+0+1] offset:0 // lwoB_0_0_0_0 = (0*LSCB)*(MT1J+PAD) + (0*LSPB) = 0
_ds_store_b64 v[vgprLocalWriteAddrB], v[vgprG2LB+2:vgprG2LB+2+1] offset:2112 // lwoB_0_0_1_0 = (0*LSCB)*(MT1J+PAD) + (1*LSPB) = 2112
_ds_store_b64 v[vgprLocalWriteAddrB], v[vgprG2LB+4:vgprG2LB+4+1] offset:4224 // lwoB_0_0_2_0 = (0*LSCB)*(MT1J+PAD) + (2*LSPB) = 4224
_ds_store_b64 v[vgprLocalWriteAddrB], v[vgprG2LB+6:vgprG2LB+6+1] offset:6336 // lwoB_0_0_3_0 = (0*LSCB)*(MT1J+PAD) + (3*LSPB) = 6336
_ds_store_b64 v[vgprLocalWriteAddrB], v[vgprG2LB+8:vgprG2LB+8+1] offset:8448 // lwoB_0_0_4_0 = (0*LSCB)*(MT1J+PAD) + (4*LSPB) = 8448
_ds_store_b64 v[vgprLocalWriteAddrB], v[vgprG2LB+10:vgprG2LB+10+1] offset:10560 // lwoB_0_0_5_0 = (0*LSCB)*(MT1J+PAD) + (5*LSPB) = 10560
_ds_store_b64 v[vgprLocalWriteAddrB], v[vgprG2LB+12:vgprG2LB+12+1] offset:12672 // lwoB_0_0_6_0 = (0*LSCB)*(MT1J+PAD) + (6*LSPB) = 12672
_ds_store_b64 v[vgprLocalWriteAddrB], v[vgprG2LB+14:vgprG2LB+14+1] offset:14784 // lwoB_0_0_7_0 = (0*LSCB)*(MT1J+PAD) + (7*LSPB) = 14784


/* Recalc local read offsets */


s_waitcnt lgkmcnt(0)                               // lgkmcnt=0 vmcnt=-15wait for local write

// Skip force waitcnt0
s_barrier //


/* local read reset offsets a */


	;; [unrolled: 1-line block ×3, first 2 shown]
/* local read reset offsets b */


	;; [unrolled: 1-line block ×3, first 2 shown]
/* local read init pointers a */


/* localReadInitPointers */


/* local read init pointers b */


/* localReadInitPointers */


/* tail loop: macs */

TailLoopBeginL_6:


/* tail loop unroll iter 0 */


/* local read a */

_ds_load_b64 v[vgprValuA_X0_I0+0:vgprValuA_X0_I0+0+1], v[vgprLocalReadAddrA] offset:0 // L -> Reg lro=0 swapByteOffset=0 ti=64 vIdx=0 rIdx=0 oIdx=0 buffer=0 iui=0


/* local read b */

_ds_load_b64 v[vgprValuB_X0_I0+0:vgprValuB_X0_I0+0+1], v[vgprLocalReadAddrB] offset:0 // L -> Reg lro=0 swapByteOffset=0 ti=16 vIdx=0 rIdx=0 oIdx=0 buffer=0 iui=0
_ds_load_b64 v[vgprValuB_X0_I0+2:vgprValuB_X0_I0+2+1], v[vgprLocalReadAddrB] offset:4224 // L -> Reg lro=0 swapByteOffset=0 ti=16 vIdx=1 rIdx=0 oIdx=0 buffer=0 iui=0
	;; [unrolled: 1-line block ×4, first 2 shown]


/* local read inc a */

s_mov_b32 s34, 0x800                               // inc
_v_add_co_u32 v[vgprLocalReadAddrA], vcc, s34, v[vgprLocalReadAddrA] // lrA += 2048 (LSU*(MT+PAD)*bpe)


/* local read inc b */

s_mov_b32 s34, 0x20                                // inc
_v_add_co_u32 v[vgprLocalReadAddrB], vcc, s34, v[vgprLocalReadAddrB] // lrB += 32 (LSU*bpe)

s_waitcnt lgkmcnt(0)                               // lgkmcnt=0 vmcnt=-14wait for local read



/* tail loop mfma iter 0: numReadsIterCoalescedA=1, numReadsIterCoalescedB=1 */
v_and_b32 v151, 63, v[vgprSerial]                  // v151 = v[vgprSerial] % 64
v_lshrrev_b32 v151, 4, v151                        // v151 = v151 / 16
                                                   // v151 = v151 * 1 (multiplier is 1, do nothing)
v_cmp_ge_i32 s[64:65], v151, s[sgprLoopCounterL]   // check K index >= Size L
v_cndmask_b32 v[vgprValuB_X0_I0+0+0+0+0], v[vgprValuB_X0_I0+0+0+0+0], 0x0, s[64:65] // set 0 if K_idx >= sizeL
v_cndmask_b32 v[vgprValuB_X0_I0+2+0+0+0], v[vgprValuB_X0_I0+2+0+0+0], 0x0, s[64:65] // set 0 if K_idx >= sizeL
	;; [unrolled: 1-line block ×8, first 2 shown]
s_nop 1
v_add_f32 v151, -v[vgprValuA_X0_I0+0+0+0+1], 0     // Ai=-Ai
v_mfma_f32_16x16x4_f32 v[0+0:3+0], v[vgprValuB_X0_I0+0+0+0], v[vgprValuA_X0_I0+0+0+0], v[0:3]
 // Cr += Ar*Br
v_mfma_f32_16x16x4_f32 v[16+0:19+0], v[vgprValuB_X0_I0+0+0+0], v[vgprValuA_X0_I0+0+0+0+1], v[16:19]
 // Ci += Ai*Br
v_mfma_f32_16x16x4_f32 v[0+0:3+0], v[vgprValuB_X0_I0+0+0+0+1], v151, v[0:3]
 // Cr += -Ai*Bi
v_mfma_f32_16x16x4_f32 v[16+0:19+0], v[vgprValuB_X0_I0+0+0+0+1], v[vgprValuA_X0_I0+0+0+0], v[16:19]
 // Ci += Ar*Bi
v_mfma_f32_16x16x4_f32 v[4+0:7+0], v[vgprValuB_X0_I0+2+0+0], v[vgprValuA_X0_I0+0+0+0], v[4:7]
 // Cr += Ar*Br
v_mfma_f32_16x16x4_f32 v[20+0:23+0], v[vgprValuB_X0_I0+2+0+0], v[vgprValuA_X0_I0+0+0+0+1], v[20:23]
 // Ci += Ai*Br
v_mfma_f32_16x16x4_f32 v[4+0:7+0], v[vgprValuB_X0_I0+2+0+0+1], v151, v[4:7]
 // Cr += -Ai*Bi
v_mfma_f32_16x16x4_f32 v[20+0:23+0], v[vgprValuB_X0_I0+2+0+0+1], v[vgprValuA_X0_I0+0+0+0], v[20:23]
 // Ci += Ar*Bi
	;; [unrolled: 8-line block ×4, first 2 shown]


/* closeLoop loopL finalLoop=0 tailLoop=1 */
s_sub_i32 s[sgprLoopCounterL], s[sgprLoopCounterL], 0x4 // dec counterL (tailLoop)
s_add_u32 s[sgprOrigLoopCounter], s[sgprOrigLoopCounter], 0x4 // inc counterL
s_cmp_le_i32 s[sgprLoopCounterL], 0x0              // counterL<=0
s_cbranch_scc1 TailLoopEndL_7                      // exit LoopL


/* tail loop unroll iter 1 */


/* local read a */

_ds_load_b64 v[vgprValuA_X1_I0+0:vgprValuA_X1_I0+0+1], v[vgprLocalReadAddrA] offset:0 // L -> Reg lro=0 swapByteOffset=0 ti=64 vIdx=0 rIdx=0 oIdx=0 buffer=1 iui=0


/* local read b */

_ds_load_b64 v[vgprValuB_X1_I0+0:vgprValuB_X1_I0+0+1], v[vgprLocalReadAddrB] offset:0 // L -> Reg lro=0 swapByteOffset=0 ti=16 vIdx=0 rIdx=0 oIdx=0 buffer=1 iui=0
_ds_load_b64 v[vgprValuB_X1_I0+2:vgprValuB_X1_I0+2+1], v[vgprLocalReadAddrB] offset:4224 // L -> Reg lro=0 swapByteOffset=0 ti=16 vIdx=1 rIdx=0 oIdx=0 buffer=1 iui=0
	;; [unrolled: 1-line block ×4, first 2 shown]


/* local read inc a */

s_mov_b32 s34, 0x800                               // inc
_v_add_co_u32 v[vgprLocalReadAddrA], vcc, s34, v[vgprLocalReadAddrA] // lrA += 2048 (LSU*(MT+PAD)*bpe)


/* local read inc b */

s_mov_b32 s34, 0x20                                // inc
_v_add_co_u32 v[vgprLocalReadAddrB], vcc, s34, v[vgprLocalReadAddrB] // lrB += 32 (LSU*bpe)

s_waitcnt lgkmcnt(0)                               // lgkmcnt=0 vmcnt=-14wait for local read


	;; [unrolled: 1-line block ×3, first 2 shown]
/* tail loop mfma iter 1: numReadsIterCoalescedA=1, numReadsIterCoalescedB=1 */
v_and_b32 v151, 63, v[vgprSerial]                  // v151 = v[vgprSerial] % 64
v_lshrrev_b32 v151, 4, v151                        // v151 = v151 / 16
                                                   // v151 = v151 * 1 (multiplier is 1, do nothing)
v_cmp_ge_i32 s[64:65], v151, s[sgprLoopCounterL]   // check K index >= Size L
v_cndmask_b32 v[vgprValuB_X1_I0+0+0+0+0], v[vgprValuB_X1_I0+0+0+0+0], 0x0, s[64:65] // set 0 if K_idx >= sizeL
v_cndmask_b32 v[vgprValuB_X1_I0+2+0+0+0], v[vgprValuB_X1_I0+2+0+0+0], 0x0, s[64:65] // set 0 if K_idx >= sizeL
	;; [unrolled: 1-line block ×8, first 2 shown]
s_nop 1
v_add_f32 v151, -v[vgprValuA_X1_I0+0+0+0+1], 0     // Ai=-Ai
v_mfma_f32_16x16x4_f32 v[0+0:3+0], v[vgprValuB_X1_I0+0+0+0], v[vgprValuA_X1_I0+0+0+0], v[0:3]
 // Cr += Ar*Br
v_mfma_f32_16x16x4_f32 v[16+0:19+0], v[vgprValuB_X1_I0+0+0+0], v[vgprValuA_X1_I0+0+0+0+1], v[16:19]
 // Ci += Ai*Br
v_mfma_f32_16x16x4_f32 v[0+0:3+0], v[vgprValuB_X1_I0+0+0+0+1], v151, v[0:3]
 // Cr += -Ai*Bi
v_mfma_f32_16x16x4_f32 v[16+0:19+0], v[vgprValuB_X1_I0+0+0+0+1], v[vgprValuA_X1_I0+0+0+0], v[16:19]
 // Ci += Ar*Bi
v_mfma_f32_16x16x4_f32 v[4+0:7+0], v[vgprValuB_X1_I0+2+0+0], v[vgprValuA_X1_I0+0+0+0], v[4:7]
 // Cr += Ar*Br
v_mfma_f32_16x16x4_f32 v[20+0:23+0], v[vgprValuB_X1_I0+2+0+0], v[vgprValuA_X1_I0+0+0+0+1], v[20:23]
 // Ci += Ai*Br
v_mfma_f32_16x16x4_f32 v[4+0:7+0], v[vgprValuB_X1_I0+2+0+0+1], v151, v[4:7]
 // Cr += -Ai*Bi
v_mfma_f32_16x16x4_f32 v[20+0:23+0], v[vgprValuB_X1_I0+2+0+0+1], v[vgprValuA_X1_I0+0+0+0], v[20:23]
 // Ci += Ar*Bi
	;; [unrolled: 8-line block ×4, first 2 shown]


/* closeLoop loopL finalLoop=0 tailLoop=1 */
s_sub_i32 s[sgprLoopCounterL], s[sgprLoopCounterL], 0x4 // dec counterL (tailLoop)
s_add_u32 s[sgprOrigLoopCounter], s[sgprOrigLoopCounter], 0x4 // inc counterL
s_cmp_le_i32 s[sgprLoopCounterL], 0x0              // counterL<=0
s_cbranch_scc1 TailLoopEndL_7                      // exit LoopL


/* tail loop unroll iter 2 */


/* local read a */

_ds_load_b64 v[vgprValuA_X2_I0+0:vgprValuA_X2_I0+0+1], v[vgprLocalReadAddrA] offset:0 // L -> Reg lro=0 swapByteOffset=0 ti=64 vIdx=0 rIdx=0 oIdx=0 buffer=2 iui=0


/* local read b */

_ds_load_b64 v[vgprValuB_X2_I0+0:vgprValuB_X2_I0+0+1], v[vgprLocalReadAddrB] offset:0 // L -> Reg lro=0 swapByteOffset=0 ti=16 vIdx=0 rIdx=0 oIdx=0 buffer=2 iui=0
_ds_load_b64 v[vgprValuB_X2_I0+2:vgprValuB_X2_I0+2+1], v[vgprLocalReadAddrB] offset:4224 // L -> Reg lro=0 swapByteOffset=0 ti=16 vIdx=1 rIdx=0 oIdx=0 buffer=2 iui=0
	;; [unrolled: 1-line block ×4, first 2 shown]


/* local read inc a */

s_mov_b32 s34, 0x800                               // inc
_v_add_co_u32 v[vgprLocalReadAddrA], vcc, s34, v[vgprLocalReadAddrA] // lrA += 2048 (LSU*(MT+PAD)*bpe)


/* local read inc b */

s_mov_b32 s34, 0x20                                // inc
_v_add_co_u32 v[vgprLocalReadAddrB], vcc, s34, v[vgprLocalReadAddrB] // lrB += 32 (LSU*bpe)

s_waitcnt lgkmcnt(0)                               // lgkmcnt=0 vmcnt=-14wait for local read


	;; [unrolled: 1-line block ×3, first 2 shown]
/* tail loop mfma iter 2: numReadsIterCoalescedA=1, numReadsIterCoalescedB=1 */
v_and_b32 v151, 63, v[vgprSerial]                  // v151 = v[vgprSerial] % 64
v_lshrrev_b32 v151, 4, v151                        // v151 = v151 / 16
                                                   // v151 = v151 * 1 (multiplier is 1, do nothing)
v_cmp_ge_i32 s[64:65], v151, s[sgprLoopCounterL]   // check K index >= Size L
v_cndmask_b32 v[vgprValuB_X2_I0+0+0+0+0], v[vgprValuB_X2_I0+0+0+0+0], 0x0, s[64:65] // set 0 if K_idx >= sizeL
v_cndmask_b32 v[vgprValuB_X2_I0+2+0+0+0], v[vgprValuB_X2_I0+2+0+0+0], 0x0, s[64:65] // set 0 if K_idx >= sizeL
	;; [unrolled: 1-line block ×8, first 2 shown]
s_nop 1
v_add_f32 v151, -v[vgprValuA_X2_I0+0+0+0+1], 0     // Ai=-Ai
v_mfma_f32_16x16x4_f32 v[0+0:3+0], v[vgprValuB_X2_I0+0+0+0], v[vgprValuA_X2_I0+0+0+0], v[0:3]
 // Cr += Ar*Br
v_mfma_f32_16x16x4_f32 v[16+0:19+0], v[vgprValuB_X2_I0+0+0+0], v[vgprValuA_X2_I0+0+0+0+1], v[16:19]
 // Ci += Ai*Br
v_mfma_f32_16x16x4_f32 v[0+0:3+0], v[vgprValuB_X2_I0+0+0+0+1], v151, v[0:3]
 // Cr += -Ai*Bi
v_mfma_f32_16x16x4_f32 v[16+0:19+0], v[vgprValuB_X2_I0+0+0+0+1], v[vgprValuA_X2_I0+0+0+0], v[16:19]
 // Ci += Ar*Bi
v_mfma_f32_16x16x4_f32 v[4+0:7+0], v[vgprValuB_X2_I0+2+0+0], v[vgprValuA_X2_I0+0+0+0], v[4:7]
 // Cr += Ar*Br
v_mfma_f32_16x16x4_f32 v[20+0:23+0], v[vgprValuB_X2_I0+2+0+0], v[vgprValuA_X2_I0+0+0+0+1], v[20:23]
 // Ci += Ai*Br
v_mfma_f32_16x16x4_f32 v[4+0:7+0], v[vgprValuB_X2_I0+2+0+0+1], v151, v[4:7]
 // Cr += -Ai*Bi
v_mfma_f32_16x16x4_f32 v[20+0:23+0], v[vgprValuB_X2_I0+2+0+0+1], v[vgprValuA_X2_I0+0+0+0], v[20:23]
 // Ci += Ar*Bi
	;; [unrolled: 8-line block ×4, first 2 shown]


/* closeLoop loopL finalLoop=0 tailLoop=1 */
s_sub_i32 s[sgprLoopCounterL], s[sgprLoopCounterL], 0x4 // dec counterL (tailLoop)
s_add_u32 s[sgprOrigLoopCounter], s[sgprOrigLoopCounter], 0x4 // inc counterL
s_cmp_le_i32 s[sgprLoopCounterL], 0x0              // counterL<=0
s_cbranch_scc1 TailLoopEndL_7                      // exit LoopL


/* tail loop unroll iter 3 */


/* local read a */

_ds_load_b64 v[vgprValuA_X3_I0+0:vgprValuA_X3_I0+0+1], v[vgprLocalReadAddrA] offset:0 // L -> Reg lro=0 swapByteOffset=0 ti=64 vIdx=0 rIdx=0 oIdx=0 buffer=3 iui=0


/* local read b */

_ds_load_b64 v[vgprValuB_X3_I0+0:vgprValuB_X3_I0+0+1], v[vgprLocalReadAddrB] offset:0 // L -> Reg lro=0 swapByteOffset=0 ti=16 vIdx=0 rIdx=0 oIdx=0 buffer=3 iui=0
_ds_load_b64 v[vgprValuB_X3_I0+2:vgprValuB_X3_I0+2+1], v[vgprLocalReadAddrB] offset:4224 // L -> Reg lro=0 swapByteOffset=0 ti=16 vIdx=1 rIdx=0 oIdx=0 buffer=3 iui=0
	;; [unrolled: 1-line block ×4, first 2 shown]


/* local read inc a */

s_mov_b32 s34, 0x800                               // inc
_v_add_co_u32 v[vgprLocalReadAddrA], vcc, s34, v[vgprLocalReadAddrA] // lrA += 2048 (LSU*(MT+PAD)*bpe)


/* local read inc b */

s_mov_b32 s34, 0x20                                // inc
_v_add_co_u32 v[vgprLocalReadAddrB], vcc, s34, v[vgprLocalReadAddrB] // lrB += 32 (LSU*bpe)

s_waitcnt lgkmcnt(0)                               // lgkmcnt=0 vmcnt=-14wait for local read


	;; [unrolled: 1-line block ×3, first 2 shown]
/* tail loop mfma iter 3: numReadsIterCoalescedA=1, numReadsIterCoalescedB=1 */
v_and_b32 v151, 63, v[vgprSerial]                  // v151 = v[vgprSerial] % 64
v_lshrrev_b32 v151, 4, v151                        // v151 = v151 / 16
                                                   // v151 = v151 * 1 (multiplier is 1, do nothing)
v_cmp_ge_i32 s[64:65], v151, s[sgprLoopCounterL]   // check K index >= Size L
v_cndmask_b32 v[vgprValuB_X3_I0+0+0+0+0], v[vgprValuB_X3_I0+0+0+0+0], 0x0, s[64:65] // set 0 if K_idx >= sizeL
v_cndmask_b32 v[vgprValuB_X3_I0+2+0+0+0], v[vgprValuB_X3_I0+2+0+0+0], 0x0, s[64:65] // set 0 if K_idx >= sizeL
	;; [unrolled: 1-line block ×8, first 2 shown]
s_nop 1
v_add_f32 v151, -v[vgprValuA_X3_I0+0+0+0+1], 0     // Ai=-Ai
v_mfma_f32_16x16x4_f32 v[0+0:3+0], v[vgprValuB_X3_I0+0+0+0], v[vgprValuA_X3_I0+0+0+0], v[0:3]
 // Cr += Ar*Br
v_mfma_f32_16x16x4_f32 v[16+0:19+0], v[vgprValuB_X3_I0+0+0+0], v[vgprValuA_X3_I0+0+0+0+1], v[16:19]
 // Ci += Ai*Br
v_mfma_f32_16x16x4_f32 v[0+0:3+0], v[vgprValuB_X3_I0+0+0+0+1], v151, v[0:3]
 // Cr += -Ai*Bi
v_mfma_f32_16x16x4_f32 v[16+0:19+0], v[vgprValuB_X3_I0+0+0+0+1], v[vgprValuA_X3_I0+0+0+0], v[16:19]
 // Ci += Ar*Bi
v_mfma_f32_16x16x4_f32 v[4+0:7+0], v[vgprValuB_X3_I0+2+0+0], v[vgprValuA_X3_I0+0+0+0], v[4:7]
 // Cr += Ar*Br
v_mfma_f32_16x16x4_f32 v[20+0:23+0], v[vgprValuB_X3_I0+2+0+0], v[vgprValuA_X3_I0+0+0+0+1], v[20:23]
 // Ci += Ai*Br
v_mfma_f32_16x16x4_f32 v[4+0:7+0], v[vgprValuB_X3_I0+2+0+0+1], v151, v[4:7]
 // Cr += -Ai*Bi
v_mfma_f32_16x16x4_f32 v[20+0:23+0], v[vgprValuB_X3_I0+2+0+0+1], v[vgprValuA_X3_I0+0+0+0], v[20:23]
 // Ci += Ar*Bi
v_mfma_f32_16x16x4_f32 v[8+0:11+0], v[vgprValuB_X3_I0+4+0+0], v[vgprValuA_X3_I0+0+0+0], v[8:11]
 // Cr += Ar*Br
v_mfma_f32_16x16x4_f32 v[24+0:27+0], v[vgprValuB_X3_I0+4+0+0], v[vgprValuA_X3_I0+0+0+0+1], v[24:27]
 // Ci += Ai*Br
v_mfma_f32_16x16x4_f32 v[8+0:11+0], v[vgprValuB_X3_I0+4+0+0+1], v151, v[8:11]
 // Cr += -Ai*Bi
v_mfma_f32_16x16x4_f32 v[24+0:27+0], v[vgprValuB_X3_I0+4+0+0+1], v[vgprValuA_X3_I0+0+0+0], v[24:27]
 // Ci += Ar*Bi
v_mfma_f32_16x16x4_f32 v[12+0:15+0], v[vgprValuB_X3_I0+6+0+0], v[vgprValuA_X3_I0+0+0+0], v[12:15]
 // Cr += Ar*Br
v_mfma_f32_16x16x4_f32 v[28+0:31+0], v[vgprValuB_X3_I0+6+0+0], v[vgprValuA_X3_I0+0+0+0+1], v[28:31]
 // Ci += Ai*Br
v_mfma_f32_16x16x4_f32 v[12+0:15+0], v[vgprValuB_X3_I0+6+0+0+1], v151, v[12:15]
 // Cr += -Ai*Bi
v_mfma_f32_16x16x4_f32 v[28+0:31+0], v[vgprValuB_X3_I0+6+0+0+1], v[vgprValuA_X3_I0+0+0+0], v[28:31]
 // Ci += Ar*Bi


/* closeLoop loopL finalLoop=0 tailLoop=1 */
s_sub_i32 s[sgprLoopCounterL], s[sgprLoopCounterL], 0x4 // dec counterL (tailLoop)
s_add_u32 s[sgprOrigLoopCounter], s[sgprOrigLoopCounter], 0x4 // inc counterL
s_cmp_le_i32 s[sgprLoopCounterL], 0x0              // counterL<=0
s_cbranch_scc1 TailLoopEndL_7                      // exit LoopL


/* tail loop unroll iter 4 */


/* local read a */

_ds_load_b64 v[vgprValuA_X4_I0+0:vgprValuA_X4_I0+0+1], v[vgprLocalReadAddrA] offset:0 // L -> Reg lro=0 swapByteOffset=0 ti=64 vIdx=0 rIdx=0 oIdx=0 buffer=4 iui=0


/* local read b */

_ds_load_b64 v[vgprValuB_X4_I0+0:vgprValuB_X4_I0+0+1], v[vgprLocalReadAddrB] offset:0 // L -> Reg lro=0 swapByteOffset=0 ti=16 vIdx=0 rIdx=0 oIdx=0 buffer=4 iui=0
_ds_load_b64 v[vgprValuB_X4_I0+2:vgprValuB_X4_I0+2+1], v[vgprLocalReadAddrB] offset:4224 // L -> Reg lro=0 swapByteOffset=0 ti=16 vIdx=1 rIdx=0 oIdx=0 buffer=4 iui=0
	;; [unrolled: 1-line block ×4, first 2 shown]


/* local read inc a */

s_mov_b32 s34, 0x800                               // inc
_v_add_co_u32 v[vgprLocalReadAddrA], vcc, s34, v[vgprLocalReadAddrA] // lrA += 2048 (LSU*(MT+PAD)*bpe)


/* local read inc b */

s_mov_b32 s34, 0x20                                // inc
_v_add_co_u32 v[vgprLocalReadAddrB], vcc, s34, v[vgprLocalReadAddrB] // lrB += 32 (LSU*bpe)

s_waitcnt lgkmcnt(0)                               // lgkmcnt=0 vmcnt=-14wait for local read


	;; [unrolled: 1-line block ×3, first 2 shown]
/* tail loop mfma iter 4: numReadsIterCoalescedA=1, numReadsIterCoalescedB=1 */
v_and_b32 v151, 63, v[vgprSerial]                  // v151 = v[vgprSerial] % 64
v_lshrrev_b32 v151, 4, v151                        // v151 = v151 / 16
                                                   // v151 = v151 * 1 (multiplier is 1, do nothing)
v_cmp_ge_i32 s[64:65], v151, s[sgprLoopCounterL]   // check K index >= Size L
v_cndmask_b32 v[vgprValuB_X4_I0+0+0+0+0], v[vgprValuB_X4_I0+0+0+0+0], 0x0, s[64:65] // set 0 if K_idx >= sizeL
v_cndmask_b32 v[vgprValuB_X4_I0+2+0+0+0], v[vgprValuB_X4_I0+2+0+0+0], 0x0, s[64:65] // set 0 if K_idx >= sizeL
	;; [unrolled: 1-line block ×8, first 2 shown]
s_nop 1
v_add_f32 v151, -v[vgprValuA_X4_I0+0+0+0+1], 0     // Ai=-Ai
v_mfma_f32_16x16x4_f32 v[0+0:3+0], v[vgprValuB_X4_I0+0+0+0], v[vgprValuA_X4_I0+0+0+0], v[0:3]
 // Cr += Ar*Br
v_mfma_f32_16x16x4_f32 v[16+0:19+0], v[vgprValuB_X4_I0+0+0+0], v[vgprValuA_X4_I0+0+0+0+1], v[16:19]
 // Ci += Ai*Br
v_mfma_f32_16x16x4_f32 v[0+0:3+0], v[vgprValuB_X4_I0+0+0+0+1], v151, v[0:3]
 // Cr += -Ai*Bi
v_mfma_f32_16x16x4_f32 v[16+0:19+0], v[vgprValuB_X4_I0+0+0+0+1], v[vgprValuA_X4_I0+0+0+0], v[16:19]
 // Ci += Ar*Bi
v_mfma_f32_16x16x4_f32 v[4+0:7+0], v[vgprValuB_X4_I0+2+0+0], v[vgprValuA_X4_I0+0+0+0], v[4:7]
 // Cr += Ar*Br
v_mfma_f32_16x16x4_f32 v[20+0:23+0], v[vgprValuB_X4_I0+2+0+0], v[vgprValuA_X4_I0+0+0+0+1], v[20:23]
 // Ci += Ai*Br
v_mfma_f32_16x16x4_f32 v[4+0:7+0], v[vgprValuB_X4_I0+2+0+0+1], v151, v[4:7]
 // Cr += -Ai*Bi
v_mfma_f32_16x16x4_f32 v[20+0:23+0], v[vgprValuB_X4_I0+2+0+0+1], v[vgprValuA_X4_I0+0+0+0], v[20:23]
 // Ci += Ar*Bi
	;; [unrolled: 8-line block ×4, first 2 shown]


/* closeLoop loopL finalLoop=0 tailLoop=1 */
s_sub_i32 s[sgprLoopCounterL], s[sgprLoopCounterL], 0x4 // dec counterL (tailLoop)
s_add_u32 s[sgprOrigLoopCounter], s[sgprOrigLoopCounter], 0x4 // inc counterL
s_cmp_le_i32 s[sgprLoopCounterL], 0x0              // counterL<=0
s_cbranch_scc1 TailLoopEndL_7                      // exit LoopL


/* tail loop unroll iter 5 */


/* local read a */

_ds_load_b64 v[vgprValuA_X5_I0+0:vgprValuA_X5_I0+0+1], v[vgprLocalReadAddrA] offset:0 // L -> Reg lro=0 swapByteOffset=0 ti=64 vIdx=0 rIdx=0 oIdx=0 buffer=5 iui=0


/* local read b */

_ds_load_b64 v[vgprValuB_X5_I0+0:vgprValuB_X5_I0+0+1], v[vgprLocalReadAddrB] offset:0 // L -> Reg lro=0 swapByteOffset=0 ti=16 vIdx=0 rIdx=0 oIdx=0 buffer=5 iui=0
_ds_load_b64 v[vgprValuB_X5_I0+2:vgprValuB_X5_I0+2+1], v[vgprLocalReadAddrB] offset:4224 // L -> Reg lro=0 swapByteOffset=0 ti=16 vIdx=1 rIdx=0 oIdx=0 buffer=5 iui=0
_ds_load_b64 v[vgprValuB_X5_I0+4:vgprValuB_X5_I0+4+1], v[vgprLocalReadAddrB] offset:8448 // L -> Reg lro=0 swapByteOffset=0 ti=16 vIdx=2 rIdx=0 oIdx=0 buffer=5 iui=0
_ds_load_b64 v[vgprValuB_X5_I0+6:vgprValuB_X5_I0+6+1], v[vgprLocalReadAddrB] offset:12672 // L -> Reg lro=0 swapByteOffset=0 ti=16 vIdx=3 rIdx=0 oIdx=0 buffer=5 iui=0


/* local read inc a */

s_mov_b32 s34, 0x800                               // inc
_v_add_co_u32 v[vgprLocalReadAddrA], vcc, s34, v[vgprLocalReadAddrA] // lrA += 2048 (LSU*(MT+PAD)*bpe)


/* local read inc b */

s_mov_b32 s34, 0x20                                // inc
_v_add_co_u32 v[vgprLocalReadAddrB], vcc, s34, v[vgprLocalReadAddrB] // lrB += 32 (LSU*bpe)

s_waitcnt lgkmcnt(0)                               // lgkmcnt=0 vmcnt=-14wait for local read



/* tail loop mfma iter 5: numReadsIterCoalescedA=1, numReadsIterCoalescedB=1 */
v_and_b32 v151, 63, v[vgprSerial]                  // v151 = v[vgprSerial] % 64
v_lshrrev_b32 v151, 4, v151                        // v151 = v151 / 16
                                                   // v151 = v151 * 1 (multiplier is 1, do nothing)
v_cmp_ge_i32 s[64:65], v151, s[sgprLoopCounterL]   // check K index >= Size L
v_cndmask_b32 v[vgprValuB_X5_I0+0+0+0+0], v[vgprValuB_X5_I0+0+0+0+0], 0x0, s[64:65] // set 0 if K_idx >= sizeL
v_cndmask_b32 v[vgprValuB_X5_I0+2+0+0+0], v[vgprValuB_X5_I0+2+0+0+0], 0x0, s[64:65] // set 0 if K_idx >= sizeL
	;; [unrolled: 1-line block ×8, first 2 shown]
s_nop 1
v_add_f32 v151, -v[vgprValuA_X5_I0+0+0+0+1], 0     // Ai=-Ai
v_mfma_f32_16x16x4_f32 v[0+0:3+0], v[vgprValuB_X5_I0+0+0+0], v[vgprValuA_X5_I0+0+0+0], v[0:3]
 // Cr += Ar*Br
v_mfma_f32_16x16x4_f32 v[16+0:19+0], v[vgprValuB_X5_I0+0+0+0], v[vgprValuA_X5_I0+0+0+0+1], v[16:19]
 // Ci += Ai*Br
v_mfma_f32_16x16x4_f32 v[0+0:3+0], v[vgprValuB_X5_I0+0+0+0+1], v151, v[0:3]
 // Cr += -Ai*Bi
v_mfma_f32_16x16x4_f32 v[16+0:19+0], v[vgprValuB_X5_I0+0+0+0+1], v[vgprValuA_X5_I0+0+0+0], v[16:19]
 // Ci += Ar*Bi
v_mfma_f32_16x16x4_f32 v[4+0:7+0], v[vgprValuB_X5_I0+2+0+0], v[vgprValuA_X5_I0+0+0+0], v[4:7]
 // Cr += Ar*Br
v_mfma_f32_16x16x4_f32 v[20+0:23+0], v[vgprValuB_X5_I0+2+0+0], v[vgprValuA_X5_I0+0+0+0+1], v[20:23]
 // Ci += Ai*Br
v_mfma_f32_16x16x4_f32 v[4+0:7+0], v[vgprValuB_X5_I0+2+0+0+1], v151, v[4:7]
 // Cr += -Ai*Bi
v_mfma_f32_16x16x4_f32 v[20+0:23+0], v[vgprValuB_X5_I0+2+0+0+1], v[vgprValuA_X5_I0+0+0+0], v[20:23]
 // Ci += Ar*Bi
	;; [unrolled: 8-line block ×4, first 2 shown]


/* closeLoop loopL finalLoop=0 tailLoop=1 */
s_sub_i32 s[sgprLoopCounterL], s[sgprLoopCounterL], 0x4 // dec counterL (tailLoop)
s_add_u32 s[sgprOrigLoopCounter], s[sgprOrigLoopCounter], 0x4 // inc counterL
s_cmp_le_i32 s[sgprLoopCounterL], 0x0              // counterL<=0
s_cbranch_scc1 TailLoopEndL_7                      // exit LoopL


/* tail loop unroll iter 6 */


/* local read a */

_ds_load_b64 v[vgprValuA_X6_I0+0:vgprValuA_X6_I0+0+1], v[vgprLocalReadAddrA] offset:0 // L -> Reg lro=0 swapByteOffset=0 ti=64 vIdx=0 rIdx=0 oIdx=0 buffer=6 iui=0


/* local read b */

_ds_load_b64 v[vgprValuB_X6_I0+0:vgprValuB_X6_I0+0+1], v[vgprLocalReadAddrB] offset:0 // L -> Reg lro=0 swapByteOffset=0 ti=16 vIdx=0 rIdx=0 oIdx=0 buffer=6 iui=0
_ds_load_b64 v[vgprValuB_X6_I0+2:vgprValuB_X6_I0+2+1], v[vgprLocalReadAddrB] offset:4224 // L -> Reg lro=0 swapByteOffset=0 ti=16 vIdx=1 rIdx=0 oIdx=0 buffer=6 iui=0
_ds_load_b64 v[vgprValuB_X6_I0+4:vgprValuB_X6_I0+4+1], v[vgprLocalReadAddrB] offset:8448 // L -> Reg lro=0 swapByteOffset=0 ti=16 vIdx=2 rIdx=0 oIdx=0 buffer=6 iui=0
_ds_load_b64 v[vgprValuB_X6_I0+6:vgprValuB_X6_I0+6+1], v[vgprLocalReadAddrB] offset:12672 // L -> Reg lro=0 swapByteOffset=0 ti=16 vIdx=3 rIdx=0 oIdx=0 buffer=6 iui=0


/* local read inc a */

s_mov_b32 s34, 0x800                               // inc
_v_add_co_u32 v[vgprLocalReadAddrA], vcc, s34, v[vgprLocalReadAddrA] // lrA += 2048 (LSU*(MT+PAD)*bpe)


/* local read inc b */

s_mov_b32 s34, 0x20                                // inc
_v_add_co_u32 v[vgprLocalReadAddrB], vcc, s34, v[vgprLocalReadAddrB] // lrB += 32 (LSU*bpe)

s_waitcnt lgkmcnt(0)                               // lgkmcnt=0 vmcnt=-14wait for local read


	;; [unrolled: 1-line block ×3, first 2 shown]
/* tail loop mfma iter 6: numReadsIterCoalescedA=1, numReadsIterCoalescedB=1 */
v_and_b32 v151, 63, v[vgprSerial]                  // v151 = v[vgprSerial] % 64
v_lshrrev_b32 v151, 4, v151                        // v151 = v151 / 16
                                                   // v151 = v151 * 1 (multiplier is 1, do nothing)
v_cmp_ge_i32 s[64:65], v151, s[sgprLoopCounterL]   // check K index >= Size L
v_cndmask_b32 v[vgprValuB_X6_I0+0+0+0+0], v[vgprValuB_X6_I0+0+0+0+0], 0x0, s[64:65] // set 0 if K_idx >= sizeL
v_cndmask_b32 v[vgprValuB_X6_I0+2+0+0+0], v[vgprValuB_X6_I0+2+0+0+0], 0x0, s[64:65] // set 0 if K_idx >= sizeL
	;; [unrolled: 1-line block ×8, first 2 shown]
s_nop 1
v_add_f32 v151, -v[vgprValuA_X6_I0+0+0+0+1], 0     // Ai=-Ai
v_mfma_f32_16x16x4_f32 v[0+0:3+0], v[vgprValuB_X6_I0+0+0+0], v[vgprValuA_X6_I0+0+0+0], v[0:3]
 // Cr += Ar*Br
v_mfma_f32_16x16x4_f32 v[16+0:19+0], v[vgprValuB_X6_I0+0+0+0], v[vgprValuA_X6_I0+0+0+0+1], v[16:19]
 // Ci += Ai*Br
v_mfma_f32_16x16x4_f32 v[0+0:3+0], v[vgprValuB_X6_I0+0+0+0+1], v151, v[0:3]
 // Cr += -Ai*Bi
v_mfma_f32_16x16x4_f32 v[16+0:19+0], v[vgprValuB_X6_I0+0+0+0+1], v[vgprValuA_X6_I0+0+0+0], v[16:19]
 // Ci += Ar*Bi
v_mfma_f32_16x16x4_f32 v[4+0:7+0], v[vgprValuB_X6_I0+2+0+0], v[vgprValuA_X6_I0+0+0+0], v[4:7]
 // Cr += Ar*Br
v_mfma_f32_16x16x4_f32 v[20+0:23+0], v[vgprValuB_X6_I0+2+0+0], v[vgprValuA_X6_I0+0+0+0+1], v[20:23]
 // Ci += Ai*Br
v_mfma_f32_16x16x4_f32 v[4+0:7+0], v[vgprValuB_X6_I0+2+0+0+1], v151, v[4:7]
 // Cr += -Ai*Bi
v_mfma_f32_16x16x4_f32 v[20+0:23+0], v[vgprValuB_X6_I0+2+0+0+1], v[vgprValuA_X6_I0+0+0+0], v[20:23]
 // Ci += Ar*Bi
	;; [unrolled: 8-line block ×4, first 2 shown]


/* closeLoop loopL finalLoop=0 tailLoop=1 */
s_sub_i32 s[sgprLoopCounterL], s[sgprLoopCounterL], 0x4 // dec counterL (tailLoop)
s_add_u32 s[sgprOrigLoopCounter], s[sgprOrigLoopCounter], 0x4 // inc counterL
s_cmp_le_i32 s[sgprLoopCounterL], 0x0              // counterL<=0
s_cbranch_scc1 TailLoopEndL_7                      // exit LoopL


/* tail loop unroll iter 7 */


/* local read a */

_ds_load_b64 v[vgprValuA_X7_I0+0:vgprValuA_X7_I0+0+1], v[vgprLocalReadAddrA] offset:0 // L -> Reg lro=0 swapByteOffset=0 ti=64 vIdx=0 rIdx=0 oIdx=0 buffer=7 iui=0


/* local read b */

_ds_load_b64 v[vgprValuB_X7_I0+0:vgprValuB_X7_I0+0+1], v[vgprLocalReadAddrB] offset:0 // L -> Reg lro=0 swapByteOffset=0 ti=16 vIdx=0 rIdx=0 oIdx=0 buffer=7 iui=0
_ds_load_b64 v[vgprValuB_X7_I0+2:vgprValuB_X7_I0+2+1], v[vgprLocalReadAddrB] offset:4224 // L -> Reg lro=0 swapByteOffset=0 ti=16 vIdx=1 rIdx=0 oIdx=0 buffer=7 iui=0
	;; [unrolled: 1-line block ×4, first 2 shown]


/* local read inc a */

s_mov_b32 s34, 0x800                               // inc
_v_add_co_u32 v[vgprLocalReadAddrA], vcc, s34, v[vgprLocalReadAddrA] // lrA += 2048 (LSU*(MT+PAD)*bpe)


/* local read inc b */

s_mov_b32 s34, 0x28                                // inc
_v_add_co_u32 v[vgprLocalReadAddrB], vcc, s34, v[vgprLocalReadAddrB] // lrB += 40 (LSU*bpe)

s_waitcnt lgkmcnt(0)                               // lgkmcnt=0 vmcnt=-14wait for local read


	;; [unrolled: 1-line block ×3, first 2 shown]
/* tail loop mfma iter 7: numReadsIterCoalescedA=1, numReadsIterCoalescedB=1 */
v_and_b32 v151, 63, v[vgprSerial]                  // v151 = v[vgprSerial] % 64
v_lshrrev_b32 v151, 4, v151                        // v151 = v151 / 16
                                                   // v151 = v151 * 1 (multiplier is 1, do nothing)
v_cmp_ge_i32 s[64:65], v151, s[sgprLoopCounterL]   // check K index >= Size L
v_cndmask_b32 v[vgprValuB_X7_I0+0+0+0+0], v[vgprValuB_X7_I0+0+0+0+0], 0x0, s[64:65] // set 0 if K_idx >= sizeL
v_cndmask_b32 v[vgprValuB_X7_I0+2+0+0+0], v[vgprValuB_X7_I0+2+0+0+0], 0x0, s[64:65] // set 0 if K_idx >= sizeL
	;; [unrolled: 1-line block ×8, first 2 shown]
s_nop 1
v_add_f32 v151, -v[vgprValuA_X7_I0+0+0+0+1], 0     // Ai=-Ai
v_mfma_f32_16x16x4_f32 v[0+0:3+0], v[vgprValuB_X7_I0+0+0+0], v[vgprValuA_X7_I0+0+0+0], v[0:3]
 // Cr += Ar*Br
v_mfma_f32_16x16x4_f32 v[16+0:19+0], v[vgprValuB_X7_I0+0+0+0], v[vgprValuA_X7_I0+0+0+0+1], v[16:19]
 // Ci += Ai*Br
v_mfma_f32_16x16x4_f32 v[0+0:3+0], v[vgprValuB_X7_I0+0+0+0+1], v151, v[0:3]
 // Cr += -Ai*Bi
v_mfma_f32_16x16x4_f32 v[16+0:19+0], v[vgprValuB_X7_I0+0+0+0+1], v[vgprValuA_X7_I0+0+0+0], v[16:19]
 // Ci += Ar*Bi
v_mfma_f32_16x16x4_f32 v[4+0:7+0], v[vgprValuB_X7_I0+2+0+0], v[vgprValuA_X7_I0+0+0+0], v[4:7]
 // Cr += Ar*Br
v_mfma_f32_16x16x4_f32 v[20+0:23+0], v[vgprValuB_X7_I0+2+0+0], v[vgprValuA_X7_I0+0+0+0+1], v[20:23]
 // Ci += Ai*Br
v_mfma_f32_16x16x4_f32 v[4+0:7+0], v[vgprValuB_X7_I0+2+0+0+1], v151, v[4:7]
 // Cr += -Ai*Bi
v_mfma_f32_16x16x4_f32 v[20+0:23+0], v[vgprValuB_X7_I0+2+0+0+1], v[vgprValuA_X7_I0+0+0+0], v[20:23]
 // Ci += Ar*Bi
	;; [unrolled: 8-line block ×4, first 2 shown]


/* closeLoop loopL finalLoop=1 tailLoop=1 */
s_sub_i32 s[sgprLoopCounterL], s[sgprLoopCounterL], 0x4 // dec counterL (tailLoop)
s_add_u32 s[sgprOrigLoopCounter], s[sgprOrigLoopCounter], 0x4 // inc counterL
s_cmp_le_i32 s[sgprLoopCounterL], 0x0              // counterL<=0
s_cbranch_scc0 TailLoopBeginL_6                    // restart LoopL
TailLoopEndL_7:

SkipTailLoopL_8:

Summation_End_30:
/* endSummation: add vgpr [32...148) to pool */
.set ScalarGlobalReadOffsetB, UNDEF

/* Mapping of Acc register -> C Vgpr register */

/* Multiply MI out register with Alpha -> C Vgpr register */


	;; [unrolled: 1-line block ×3, first 2 shown]
/* not-LocalSplitU: global write indices */

/* computeStoreVgprs */
v_lshrrev_b32 v36, 6, v[vgprSerial]                // v36 = v[vgprSerial] / 64
v_and_b32 v33, 63, v[vgprSerial]                   // v33 = v[vgprSerial] % 64
v_lshrrev_b32 v33, 4, v33                          // v33 = v33 / 16
v_lshlrev_b32 v33, 0x2, v33                        // thread0 * continuous_output
v_lshrrev_b32 v37, 2, v36                          // v37 = v36 / 4
v_mul_lo_u32 v37, 0x10, v37                        // wave coordination offset 1
_v_add_lshl_u32 v33, v37, v33, 0                   // coordination 1 = vwb *(wave_id1 + tid1)
v_mul_lo_u32 v34, v33, s[sgprStrideC1J]            //  offset 1
v_mul_lo_u32 v35, v33, s[sgprStrideD1J]            //  offset 1
v_and_b32 v37, 3, v36                              // v37 = v36 % 4
v_mul_lo_u32 v37, 0x10, v37                        // wave coordination offset 0
v_and_b32 v32, 15, v[vgprSerial]                   // v32 = v[vgprSerial] % 16
_v_add_lshl_u32 v32, v37, v32, 0                   // coordination 0 = vwa *(wave_id0 + tid0)
s_mul_i32 s34, 64, s[sgprWorkGroup0]               // wgp0 * MT0
_v_add_u32 v32, s34, v32                           // coord 0 = (tid0/MI_m)*4 + waveG0*MIB_m + MT0*SG0
s_mul_i32 s34, 64, s[sgprWorkGroup1]               // wgp1 * MT1
_v_add_u32 v33, s34, v33                           // coord 1 = (tid0%MI_m) + waveG1*MIB_n + MT1*SG1


/* not-LocalSplitU: global write */

s_mov_b32 s34, s[sgprBeta+0]                       // tmp = Beta[0]
s_or_b32 s34, s[sgprBeta+1], s34                   // tmp |= Beta[1] 
s_cmpk_eq_u32 s34, 0x0                             // Beta == 0
s_cbranch_scc0 GW_Beta_45                          // Branch if Beta is not zero

s_and_b32 s54, 63, s[sgprSizeI]                    // s54 = s[sgprSizeI] % 64
s_add_u32 s55, -0x1, s[sgprNumWorkGroups0]         // 
s_cmp_ge_u32 s[sgprWorkGroup0], s55                // wg0 >= nwg0-1 ?
s_cselect_b32 s54, s54, 0                          // set rMT0
s_cmpk_gt_u32 s54, 0x0                             // rMT0 > 0
s_cbranch_scc1 GW_B0_E1_36                         // jump if edges required
s_and_b32 s54, 63, s[sgprSizeJ]                    // s54 = s[sgprSizeJ] % 64
s_add_u32 s55, -0x1, s[sgprNumWorkGroups1]         // 
s_cmp_ge_u32 s[sgprWorkGroup1], s55                // wg1 >= nwg1-1
s_cselect_b32 s54, s54, 0                          // set rMT1
s_cmpk_gt_u32 s54, 0x0                             // rMT1 > 0
s_cbranch_scc1 GW_B0_E1_36                         // jump if edges required
GW_B0_E0_33:

/* edge=0, allocate 2 sgpr. perBatchTmpS=2 perBatchMaskS=0 perElementMaskS=0 elementsPerBatch=4 */
/* optSingleColVgpr=1 optSharedColVgpr=0 optSGPRUsage=BufferLoad_Mask optSrdIncForRow=1 */

/******************************************/
/* Global Write Alpha Batch #0 (d1,d0,vc1,vc0) = */
/*    (0,0,0,0:vw1); (0,0,1,0:vw1); (0,0,2,0:vw1); (0,0,3,0:vw1) */
/******************************************/

/* calc coords, apply mask, and issue loads (if necessary) */
/* (d1,vc1,d0,vc0)=(0,0,0,0) */
/* (d1,vc1,d0,vc0)=(0,1,0,0) */
	;; [unrolled: 1-line block ×4, first 2 shown]
_v_add_lshl_u32 v38, v35, v32, 0x3                 // optSingleColVgpr scaleToBpe: sharedAddrVgpr <- cinRowPtr + coord0, scaled by BPE. BSHERE:coord0=32, coord0Vgpr=32

/* rC *= alpha batchElements=[(0, 0, 0, 0), (0, 0, 1, 0), (0, 0, 2, 0), (0, 0, 3, 0)] */
v_mul_f32 v36, s[sgprAlpha+0], v[vgprValuC+0] // 
v_mul_f32 v37, s[sgprAlpha+1], v[vgprValuC+0] // 
v_fma_f32 v[vgprValuC+40], s[sgprAlpha+1], -v[vgprValuC+16], v36
v_fma_f32 v[vgprValuC+40 +1], s[sgprAlpha+0], v[vgprValuC+16], v37
v_mul_f32 v36, s[sgprAlpha+0], v[vgprValuC+1] // 
v_mul_f32 v37, s[sgprAlpha+1], v[vgprValuC+1] // 
v_fma_f32 v[vgprValuC+42], s[sgprAlpha+1], -v[vgprValuC+17], v36
v_fma_f32 v[vgprValuC+42 +1], s[sgprAlpha+0], v[vgprValuC+17], v37
	;; [unrolled: 4-line block ×4, first 2 shown]

/* apply mask, calc new C and issue writes */
_buffer_store_b64 v[40:41], v38, s[sgprSrdD:sgprSrdD+3], 0, offen, offset:0 // store D
s_lshl_b32  s34, s[sgprStrideD1J], 3               // incToNextRow: Scale by BPE
s_add_u32  s[sgprSrdD+0], s[sgprSrdD+0], s34       // incToNextRow: gra SRD += inc(lower)
s_addc_u32  s[sgprSrdD+1], s[sgprSrdD+1], 0        // incToNextRow: gra SRD += inc(upper)
_buffer_store_b64 v[42:43], v38, s[sgprSrdD:sgprSrdD+3], 0, offen, offset:0 // store D
s_lshl_b32  s34, s[sgprStrideD1J], 3               // incToNextRow: Scale by BPE
s_add_u32  s[sgprSrdD+0], s[sgprSrdD+0], s34       // incToNextRow: gra SRD += inc(lower)
s_addc_u32  s[sgprSrdD+1], s[sgprSrdD+1], 0        // incToNextRow: gra SRD += inc(upper)
_buffer_store_b64 v[44:45], v38, s[sgprSrdD:sgprSrdD+3], 0, offen, offset:0 // store D
s_lshl_b32  s34, s[sgprStrideD1J], 3               // incToNextRow: Scale by BPE
s_add_u32  s[sgprSrdD+0], s[sgprSrdD+0], s34       // incToNextRow: gra SRD += inc(lower)
s_addc_u32  s[sgprSrdD+1], s[sgprSrdD+1], 0        // incToNextRow: gra SRD += inc(upper)
_buffer_store_b64 v[46:47], v38, s[sgprSrdD:sgprSrdD+3], 0, offen, offset:0 // store D
s_nop 0                                            // 1 wait state required when next inst writes vgprs held by previous dwordx4 store inst
/* optSingleColVgpr=1 optSharedColVgpr=0 optSGPRUsage=BufferLoad_Mask optSrdIncForRow=1 */

/******************************************/
/* Global Write Alpha Batch #1 (d1,d0,vc1,vc0) = */
/*    (1,0,0,0:vw1); (1,0,1,0:vw1); (1,0,2,0:vw1); (1,0,3,0:vw1) */
/******************************************/

/* calc coords, apply mask, and issue loads (if necessary) */
/* (d1,vc1,d0,vc0)=(1,0,0,0) */
/* (d1,vc1,d0,vc0)=(1,1,0,0) */
/* (d1,vc1,d0,vc0)=(1,2,0,0) */
/* (d1,vc1,d0,vc0)=(1,3,0,0) */

/* rC *= alpha batchElements=[(1, 0, 0, 0), (1, 0, 1, 0), (1, 0, 2, 0), (1, 0, 3, 0)] */
v_mul_f32 v36, s[sgprAlpha+0], v[vgprValuC+4] // 
v_mul_f32 v37, s[sgprAlpha+1], v[vgprValuC+4] // 
v_fma_f32 v[vgprValuC+40], s[sgprAlpha+1], -v[vgprValuC+20], v36
v_fma_f32 v[vgprValuC+40 +1], s[sgprAlpha+0], v[vgprValuC+20], v37
v_mul_f32 v36, s[sgprAlpha+0], v[vgprValuC+5] // 
v_mul_f32 v37, s[sgprAlpha+1], v[vgprValuC+5] // 
v_fma_f32 v[vgprValuC+42], s[sgprAlpha+1], -v[vgprValuC+21], v36
v_fma_f32 v[vgprValuC+42 +1], s[sgprAlpha+0], v[vgprValuC+21], v37
v_mul_f32 v36, s[sgprAlpha+0], v[vgprValuC+6] // 
v_mul_f32 v37, s[sgprAlpha+1], v[vgprValuC+6] // 
v_fma_f32 v[vgprValuC+44], s[sgprAlpha+1], -v[vgprValuC+22], v36
v_fma_f32 v[vgprValuC+44 +1], s[sgprAlpha+0], v[vgprValuC+22], v37
v_mul_f32 v36, s[sgprAlpha+0], v[vgprValuC+7] // 
v_mul_f32 v37, s[sgprAlpha+1], v[vgprValuC+7] // 
v_fma_f32 v[vgprValuC+46], s[sgprAlpha+1], -v[vgprValuC+23], v36
v_fma_f32 v[vgprValuC+46 +1], s[sgprAlpha+0], v[vgprValuC+23], v37

/* apply mask, calc new C and issue writes */
s_mul_i32 s34, s[sgprStrideD1J], 104               // scale StrideD *= numRows(13) * bpe
s_add_u32  s[sgprSrdD+0], s[sgprSrdD+0], s34       // incToNextRow: gra SRD += inc(lower)
s_addc_u32  s[sgprSrdD+1], s[sgprSrdD+1], 0        // incToNextRow: gra SRD += inc(upper)
_buffer_store_b64 v[40:41], v38, s[sgprSrdD:sgprSrdD+3], 0, offen, offset:0 // store D
s_lshl_b32  s34, s[sgprStrideD1J], 3               // incToNextRow: Scale by BPE
s_add_u32  s[sgprSrdD+0], s[sgprSrdD+0], s34       // incToNextRow: gra SRD += inc(lower)
s_addc_u32  s[sgprSrdD+1], s[sgprSrdD+1], 0        // incToNextRow: gra SRD += inc(upper)
_buffer_store_b64 v[42:43], v38, s[sgprSrdD:sgprSrdD+3], 0, offen, offset:0 // store D
s_lshl_b32  s34, s[sgprStrideD1J], 3               // incToNextRow: Scale by BPE
s_add_u32  s[sgprSrdD+0], s[sgprSrdD+0], s34       // incToNextRow: gra SRD += inc(lower)
s_addc_u32  s[sgprSrdD+1], s[sgprSrdD+1], 0        // incToNextRow: gra SRD += inc(upper)
_buffer_store_b64 v[44:45], v38, s[sgprSrdD:sgprSrdD+3], 0, offen, offset:0 // store D
s_lshl_b32  s34, s[sgprStrideD1J], 3               // incToNextRow: Scale by BPE
s_add_u32  s[sgprSrdD+0], s[sgprSrdD+0], s34       // incToNextRow: gra SRD += inc(lower)
s_addc_u32  s[sgprSrdD+1], s[sgprSrdD+1], 0        // incToNextRow: gra SRD += inc(upper)
_buffer_store_b64 v[46:47], v38, s[sgprSrdD:sgprSrdD+3], 0, offen, offset:0 // store D
s_nop 0                                            // 1 wait state required when next inst writes vgprs held by previous dwordx4 store inst
/* optSingleColVgpr=1 optSharedColVgpr=0 optSGPRUsage=BufferLoad_Mask optSrdIncForRow=1 */

/******************************************/
/* Global Write Alpha Batch #2 (d1,d0,vc1,vc0) = */
/*    (2,0,0,0:vw1); (2,0,1,0:vw1); (2,0,2,0:vw1); (2,0,3,0:vw1) */
/******************************************/

/* calc coords, apply mask, and issue loads (if necessary) */
/* (d1,vc1,d0,vc0)=(2,0,0,0) */
/* (d1,vc1,d0,vc0)=(2,1,0,0) */
/* (d1,vc1,d0,vc0)=(2,2,0,0) */
/* (d1,vc1,d0,vc0)=(2,3,0,0) */

/* rC *= alpha batchElements=[(2, 0, 0, 0), (2, 0, 1, 0), (2, 0, 2, 0), (2, 0, 3, 0)] */
v_mul_f32 v36, s[sgprAlpha+0], v[vgprValuC+8] // 
v_mul_f32 v37, s[sgprAlpha+1], v[vgprValuC+8] // 
v_fma_f32 v[vgprValuC+40], s[sgprAlpha+1], -v[vgprValuC+24], v36
v_fma_f32 v[vgprValuC+40 +1], s[sgprAlpha+0], v[vgprValuC+24], v37
v_mul_f32 v36, s[sgprAlpha+0], v[vgprValuC+9] // 
v_mul_f32 v37, s[sgprAlpha+1], v[vgprValuC+9] // 
v_fma_f32 v[vgprValuC+42], s[sgprAlpha+1], -v[vgprValuC+25], v36
v_fma_f32 v[vgprValuC+42 +1], s[sgprAlpha+0], v[vgprValuC+25], v37
v_mul_f32 v36, s[sgprAlpha+0], v[vgprValuC+10] // 
v_mul_f32 v37, s[sgprAlpha+1], v[vgprValuC+10] // 
v_fma_f32 v[vgprValuC+44], s[sgprAlpha+1], -v[vgprValuC+26], v36
v_fma_f32 v[vgprValuC+44 +1], s[sgprAlpha+0], v[vgprValuC+26], v37
v_mul_f32 v36, s[sgprAlpha+0], v[vgprValuC+11] // 
v_mul_f32 v37, s[sgprAlpha+1], v[vgprValuC+11] // 
v_fma_f32 v[vgprValuC+46], s[sgprAlpha+1], -v[vgprValuC+27], v36
v_fma_f32 v[vgprValuC+46 +1], s[sgprAlpha+0], v[vgprValuC+27], v37

/* apply mask, calc new C and issue writes */
s_mul_i32 s34, s[sgprStrideD1J], 104               // scale StrideD *= numRows(13) * bpe
s_add_u32  s[sgprSrdD+0], s[sgprSrdD+0], s34       // incToNextRow: gra SRD += inc(lower)
s_addc_u32  s[sgprSrdD+1], s[sgprSrdD+1], 0        // incToNextRow: gra SRD += inc(upper)
	;; [unrolled: 49-line block ×3, first 2 shown]
_buffer_store_b64 v[40:41], v38, s[sgprSrdD:sgprSrdD+3], 0, offen, offset:0 // store D
s_lshl_b32  s34, s[sgprStrideD1J], 3               // incToNextRow: Scale by BPE
s_add_u32  s[sgprSrdD+0], s[sgprSrdD+0], s34       // incToNextRow: gra SRD += inc(lower)
s_addc_u32  s[sgprSrdD+1], s[sgprSrdD+1], 0        // incToNextRow: gra SRD += inc(upper)
_buffer_store_b64 v[42:43], v38, s[sgprSrdD:sgprSrdD+3], 0, offen, offset:0 // store D
s_lshl_b32  s34, s[sgprStrideD1J], 3               // incToNextRow: Scale by BPE
s_add_u32  s[sgprSrdD+0], s[sgprSrdD+0], s34       // incToNextRow: gra SRD += inc(lower)
s_addc_u32  s[sgprSrdD+1], s[sgprSrdD+1], 0        // incToNextRow: gra SRD += inc(upper)
	;; [unrolled: 4-line block ×3, first 2 shown]
_buffer_store_b64 v[46:47], v38, s[sgprSrdD:sgprSrdD+3], 0, offen, offset:0 // store D
s_nop 0                                            // 1 wait state required when next inst writes vgprs held by previous dwordx4 store inst
s_branch label_GW_End_44                           // jump to end
GW_B0_E1_36:

/* edge=1, allocate 6 sgpr. perBatchTmpS=4 perBatchMaskS=2 perElementMaskS=0 elementsPerBatch=4 */
/* optSingleColVgpr=0 optSharedColVgpr=0 optSGPRUsage=BufferLoad_Edge_Mask optSrdIncForRow=0 */

/******************************************/
/* Global Write Alpha Edge Batch #0 (d1,d0,vc1,vc0) = */
/*    (0,0,0,0:vw1); (0,0,1,0:vw1); (0,0,2,0:vw1); (0,0,3,0:vw1) */
/******************************************/

/* calc coords, apply mask, and issue loads (if necessary) */
/* (d1,vc1,d0,vc0)=(0,0,0,0) */
v_cmp_lt_u32 s[54:55], v32, s[sgprSizeI]           // coord0 < size0
v_cmp_lt_u32 s[58:59], v33, s[sgprSizeJ]           // coord1 < size1
s_and_b64 s[58:59], s[54:55], s[58:59]             // in0 && in1
_v_add_lshl_u32 v38, v35, v32, 0x3                 // scaleToBpe: accumulate d0 lower and *= bpe into Cin addr
v_cndmask_b32 v38, -1, v38, s[58:59]               // LDD clip if OOB. offset
/* (d1,vc1,d0,vc0)=(0,1,0,0) */
_v_add_co_u32 v33, vcc, v33, 1                     // coord1.1: coord1Vgpr += d1*sg1*VW + vc1

/* Fix for UseInitialStridesCD, emitAddressSetupCode */
_v_add_u32 v34, v34, s[sgprStrideC1J]              // ROWINC- Move cinRowPtr to next row
_v_add_u32 v35, v35, s[sgprStrideD1J]              // Move coutRowPtr to next row
v_cmp_lt_u32 s[54:55], v32, s[sgprSizeI]           // coord0 < size0
v_cmp_lt_u32 s[58:59], v33, s[sgprSizeJ]           // coord1 < size1
s_and_b64 s[58:59], s[54:55], s[58:59]             // in0 && in1
_v_add_lshl_u32 v39, v35, v32, 0x3                 // scaleToBpe: accumulate d0 lower and *= bpe into Cin addr
v_cndmask_b32 v39, -1, v39, s[58:59]               // LDD clip if OOB. offset
/* (d1,vc1,d0,vc0)=(0,2,0,0) */
_v_add_co_u32 v33, vcc, v33, 1                     // coord1.1: coord1Vgpr += d1*sg1*VW + vc1

/* Fix for UseInitialStridesCD, emitAddressSetupCode */
_v_add_u32 v34, v34, s[sgprStrideC1J]              // ROWINC- Move cinRowPtr to next row
_v_add_u32 v35, v35, s[sgprStrideD1J]              // Move coutRowPtr to next row
	;; [unrolled: 11-line block ×3, first 2 shown]
v_cmp_lt_u32 s[54:55], v32, s[sgprSizeI]           // coord0 < size0
v_cmp_lt_u32 s[58:59], v33, s[sgprSizeJ]           // coord1 < size1
s_and_b64 s[58:59], s[54:55], s[58:59]             // in0 && in1
_v_add_lshl_u32 v45, v35, v32, 0x3                 // scaleToBpe: accumulate d0 lower and *= bpe into Cin addr
v_cndmask_b32 v45, -1, v45, s[58:59]               // LDD clip if OOB. offset

/* rC *= alpha batchElements=[(0, 0, 0, 0), (0, 0, 1, 0), (0, 0, 2, 0), (0, 0, 3, 0)] */
v_mul_f32 v36, s[sgprAlpha+0], v[vgprValuC+0] // 
v_mul_f32 v37, s[sgprAlpha+1], v[vgprValuC+0] // 
v_fma_f32 v[vgprValuC+40], s[sgprAlpha+1], -v[vgprValuC+16], v36
v_fma_f32 v[vgprValuC+40 +1], s[sgprAlpha+0], v[vgprValuC+16], v37
v_mul_f32 v36, s[sgprAlpha+0], v[vgprValuC+1] // 
v_mul_f32 v37, s[sgprAlpha+1], v[vgprValuC+1] // 
v_fma_f32 v[vgprValuC+42], s[sgprAlpha+1], -v[vgprValuC+17], v36
v_fma_f32 v[vgprValuC+42 +1], s[sgprAlpha+0], v[vgprValuC+17], v37
	;; [unrolled: 4-line block ×4, first 2 shown]

/* apply mask, calc new C and issue writes */
_buffer_store_b64 v[40:41], v38, s[sgprSrdD:sgprSrdD+3], 0, offen, offset:0 // store D
_buffer_store_b64 v[42:43], v39, s[sgprSrdD:sgprSrdD+3], 0, offen, offset:0 // store D
	;; [unrolled: 1-line block ×4, first 2 shown]
s_nop 0                                            // 1 wait state required when next inst writes vgprs held by previous dwordx4 store inst
/* optSingleColVgpr=0 optSharedColVgpr=0 optSGPRUsage=BufferLoad_Edge_Mask optSrdIncForRow=0 */

/******************************************/
/* Global Write Alpha Edge Batch #1 (d1,d0,vc1,vc0) = */
/*    (1,0,0,0:vw1); (1,0,1,0:vw1); (1,0,2,0:vw1); (1,0,3,0:vw1) */
/******************************************/

/* calc coords, apply mask, and issue loads (if necessary) */
/* (d1,vc1,d0,vc0)=(1,0,0,0) */
_v_add_co_u32 v33, vcc, v33, 13                    // coord1.1: coord1Vgpr += d1*sg1*VW + vc1

/* Fix for UseInitialStridesCD, emitAddressSetupCode */
s_mul_i32 s54, s[sgprStrideC1J], 13                // scale stride
_v_add_u32 v34, v34, s54                           // ROWINC- Move cinRowPtr to next row
s_mul_i32 s54, s[sgprStrideD1J], 13                // scale stride
_v_add_u32 v35, v35, s54                           // Move coutRowPtr to next row
v_cmp_lt_u32 s[54:55], v32, s[sgprSizeI]           // coord0 < size0
v_cmp_lt_u32 s[58:59], v33, s[sgprSizeJ]           // coord1 < size1
s_and_b64 s[58:59], s[54:55], s[58:59]             // in0 && in1
_v_add_lshl_u32 v38, v35, v32, 0x3                 // scaleToBpe: accumulate d0 lower and *= bpe into Cin addr
v_cndmask_b32 v38, -1, v38, s[58:59]               // LDD clip if OOB. offset
/* (d1,vc1,d0,vc0)=(1,1,0,0) */
_v_add_co_u32 v33, vcc, v33, 1                     // coord1.1: coord1Vgpr += d1*sg1*VW + vc1

/* Fix for UseInitialStridesCD, emitAddressSetupCode */
_v_add_u32 v34, v34, s[sgprStrideC1J]              // ROWINC- Move cinRowPtr to next row
_v_add_u32 v35, v35, s[sgprStrideD1J]              // Move coutRowPtr to next row
v_cmp_lt_u32 s[54:55], v32, s[sgprSizeI]           // coord0 < size0
v_cmp_lt_u32 s[58:59], v33, s[sgprSizeJ]           // coord1 < size1
s_and_b64 s[58:59], s[54:55], s[58:59]             // in0 && in1
_v_add_lshl_u32 v39, v35, v32, 0x3                 // scaleToBpe: accumulate d0 lower and *= bpe into Cin addr
v_cndmask_b32 v39, -1, v39, s[58:59]               // LDD clip if OOB. offset
/* (d1,vc1,d0,vc0)=(1,2,0,0) */
_v_add_co_u32 v33, vcc, v33, 1                     // coord1.1: coord1Vgpr += d1*sg1*VW + vc1

/* Fix for UseInitialStridesCD, emitAddressSetupCode */
_v_add_u32 v34, v34, s[sgprStrideC1J]              // ROWINC- Move cinRowPtr to next row
_v_add_u32 v35, v35, s[sgprStrideD1J]              // Move coutRowPtr to next row
	;; [unrolled: 11-line block ×3, first 2 shown]
v_cmp_lt_u32 s[54:55], v32, s[sgprSizeI]           // coord0 < size0
v_cmp_lt_u32 s[58:59], v33, s[sgprSizeJ]           // coord1 < size1
s_and_b64 s[58:59], s[54:55], s[58:59]             // in0 && in1
_v_add_lshl_u32 v45, v35, v32, 0x3                 // scaleToBpe: accumulate d0 lower and *= bpe into Cin addr
v_cndmask_b32 v45, -1, v45, s[58:59]               // LDD clip if OOB. offset

/* rC *= alpha batchElements=[(1, 0, 0, 0), (1, 0, 1, 0), (1, 0, 2, 0), (1, 0, 3, 0)] */
v_mul_f32 v36, s[sgprAlpha+0], v[vgprValuC+4] // 
v_mul_f32 v37, s[sgprAlpha+1], v[vgprValuC+4] // 
v_fma_f32 v[vgprValuC+40], s[sgprAlpha+1], -v[vgprValuC+20], v36
v_fma_f32 v[vgprValuC+40 +1], s[sgprAlpha+0], v[vgprValuC+20], v37
v_mul_f32 v36, s[sgprAlpha+0], v[vgprValuC+5] // 
v_mul_f32 v37, s[sgprAlpha+1], v[vgprValuC+5] // 
v_fma_f32 v[vgprValuC+42], s[sgprAlpha+1], -v[vgprValuC+21], v36
v_fma_f32 v[vgprValuC+42 +1], s[sgprAlpha+0], v[vgprValuC+21], v37
	;; [unrolled: 4-line block ×4, first 2 shown]

/* apply mask, calc new C and issue writes */
_buffer_store_b64 v[40:41], v38, s[sgprSrdD:sgprSrdD+3], 0, offen, offset:0 // store D
_buffer_store_b64 v[42:43], v39, s[sgprSrdD:sgprSrdD+3], 0, offen, offset:0 // store D
	;; [unrolled: 1-line block ×4, first 2 shown]
s_nop 0                                            // 1 wait state required when next inst writes vgprs held by previous dwordx4 store inst
/* optSingleColVgpr=0 optSharedColVgpr=0 optSGPRUsage=BufferLoad_Edge_Mask optSrdIncForRow=0 */

/******************************************/
/* Global Write Alpha Edge Batch #2 (d1,d0,vc1,vc0) = */
/*    (2,0,0,0:vw1); (2,0,1,0:vw1); (2,0,2,0:vw1); (2,0,3,0:vw1) */
/******************************************/

/* calc coords, apply mask, and issue loads (if necessary) */
/* (d1,vc1,d0,vc0)=(2,0,0,0) */
_v_add_co_u32 v33, vcc, v33, 13                    // coord1.1: coord1Vgpr += d1*sg1*VW + vc1

/* Fix for UseInitialStridesCD, emitAddressSetupCode */
s_mul_i32 s54, s[sgprStrideC1J], 13                // scale stride
_v_add_u32 v34, v34, s54                           // ROWINC- Move cinRowPtr to next row
s_mul_i32 s54, s[sgprStrideD1J], 13                // scale stride
_v_add_u32 v35, v35, s54                           // Move coutRowPtr to next row
v_cmp_lt_u32 s[54:55], v32, s[sgprSizeI]           // coord0 < size0
v_cmp_lt_u32 s[58:59], v33, s[sgprSizeJ]           // coord1 < size1
s_and_b64 s[58:59], s[54:55], s[58:59]             // in0 && in1
_v_add_lshl_u32 v38, v35, v32, 0x3                 // scaleToBpe: accumulate d0 lower and *= bpe into Cin addr
v_cndmask_b32 v38, -1, v38, s[58:59]               // LDD clip if OOB. offset
/* (d1,vc1,d0,vc0)=(2,1,0,0) */
_v_add_co_u32 v33, vcc, v33, 1                     // coord1.1: coord1Vgpr += d1*sg1*VW + vc1

/* Fix for UseInitialStridesCD, emitAddressSetupCode */
_v_add_u32 v34, v34, s[sgprStrideC1J]              // ROWINC- Move cinRowPtr to next row
_v_add_u32 v35, v35, s[sgprStrideD1J]              // Move coutRowPtr to next row
v_cmp_lt_u32 s[54:55], v32, s[sgprSizeI]           // coord0 < size0
v_cmp_lt_u32 s[58:59], v33, s[sgprSizeJ]           // coord1 < size1
s_and_b64 s[58:59], s[54:55], s[58:59]             // in0 && in1
_v_add_lshl_u32 v39, v35, v32, 0x3                 // scaleToBpe: accumulate d0 lower and *= bpe into Cin addr
v_cndmask_b32 v39, -1, v39, s[58:59]               // LDD clip if OOB. offset
/* (d1,vc1,d0,vc0)=(2,2,0,0) */
_v_add_co_u32 v33, vcc, v33, 1                     // coord1.1: coord1Vgpr += d1*sg1*VW + vc1

/* Fix for UseInitialStridesCD, emitAddressSetupCode */
_v_add_u32 v34, v34, s[sgprStrideC1J]              // ROWINC- Move cinRowPtr to next row
_v_add_u32 v35, v35, s[sgprStrideD1J]              // Move coutRowPtr to next row
	;; [unrolled: 11-line block ×3, first 2 shown]
v_cmp_lt_u32 s[54:55], v32, s[sgprSizeI]           // coord0 < size0
v_cmp_lt_u32 s[58:59], v33, s[sgprSizeJ]           // coord1 < size1
s_and_b64 s[58:59], s[54:55], s[58:59]             // in0 && in1
_v_add_lshl_u32 v45, v35, v32, 0x3                 // scaleToBpe: accumulate d0 lower and *= bpe into Cin addr
v_cndmask_b32 v45, -1, v45, s[58:59]               // LDD clip if OOB. offset

/* rC *= alpha batchElements=[(2, 0, 0, 0), (2, 0, 1, 0), (2, 0, 2, 0), (2, 0, 3, 0)] */
v_mul_f32 v36, s[sgprAlpha+0], v[vgprValuC+8] // 
v_mul_f32 v37, s[sgprAlpha+1], v[vgprValuC+8] // 
v_fma_f32 v[vgprValuC+40], s[sgprAlpha+1], -v[vgprValuC+24], v36
v_fma_f32 v[vgprValuC+40 +1], s[sgprAlpha+0], v[vgprValuC+24], v37
v_mul_f32 v36, s[sgprAlpha+0], v[vgprValuC+9] // 
v_mul_f32 v37, s[sgprAlpha+1], v[vgprValuC+9] // 
v_fma_f32 v[vgprValuC+42], s[sgprAlpha+1], -v[vgprValuC+25], v36
v_fma_f32 v[vgprValuC+42 +1], s[sgprAlpha+0], v[vgprValuC+25], v37
	;; [unrolled: 4-line block ×4, first 2 shown]

/* apply mask, calc new C and issue writes */
_buffer_store_b64 v[40:41], v38, s[sgprSrdD:sgprSrdD+3], 0, offen, offset:0 // store D
_buffer_store_b64 v[42:43], v39, s[sgprSrdD:sgprSrdD+3], 0, offen, offset:0 // store D
_buffer_store_b64 v[46:47], v44, s[sgprSrdD:sgprSrdD+3], 0, offen, offset:0 // store D
_buffer_store_b64 v[48:49], v45, s[sgprSrdD:sgprSrdD+3], 0, offen, offset:0 // store D
s_nop 0                                            // 1 wait state required when next inst writes vgprs held by previous dwordx4 store inst
/* optSingleColVgpr=0 optSharedColVgpr=0 optSGPRUsage=BufferLoad_Edge_Mask optSrdIncForRow=0 */

/******************************************/
/* Global Write Alpha Edge Batch #3 (d1,d0,vc1,vc0) = */
/*    (3,0,0,0:vw1); (3,0,1,0:vw1); (3,0,2,0:vw1); (3,0,3,0:vw1) */
/******************************************/

/* calc coords, apply mask, and issue loads (if necessary) */
/* (d1,vc1,d0,vc0)=(3,0,0,0) */
_v_add_co_u32 v33, vcc, v33, 13                    // coord1.1: coord1Vgpr += d1*sg1*VW + vc1

/* Fix for UseInitialStridesCD, emitAddressSetupCode */
s_mul_i32 s54, s[sgprStrideC1J], 13                // scale stride
_v_add_u32 v34, v34, s54                           // ROWINC- Move cinRowPtr to next row
s_mul_i32 s54, s[sgprStrideD1J], 13                // scale stride
_v_add_u32 v35, v35, s54                           // Move coutRowPtr to next row
v_cmp_lt_u32 s[54:55], v32, s[sgprSizeI]           // coord0 < size0
v_cmp_lt_u32 s[58:59], v33, s[sgprSizeJ]           // coord1 < size1
s_and_b64 s[58:59], s[54:55], s[58:59]             // in0 && in1
_v_add_lshl_u32 v38, v35, v32, 0x3                 // scaleToBpe: accumulate d0 lower and *= bpe into Cin addr
v_cndmask_b32 v38, -1, v38, s[58:59]               // LDD clip if OOB. offset
/* (d1,vc1,d0,vc0)=(3,1,0,0) */
_v_add_co_u32 v33, vcc, v33, 1                     // coord1.1: coord1Vgpr += d1*sg1*VW + vc1

/* Fix for UseInitialStridesCD, emitAddressSetupCode */
_v_add_u32 v34, v34, s[sgprStrideC1J]              // ROWINC- Move cinRowPtr to next row
_v_add_u32 v35, v35, s[sgprStrideD1J]              // Move coutRowPtr to next row
v_cmp_lt_u32 s[54:55], v32, s[sgprSizeI]           // coord0 < size0
v_cmp_lt_u32 s[58:59], v33, s[sgprSizeJ]           // coord1 < size1
s_and_b64 s[58:59], s[54:55], s[58:59]             // in0 && in1
_v_add_lshl_u32 v39, v35, v32, 0x3                 // scaleToBpe: accumulate d0 lower and *= bpe into Cin addr
v_cndmask_b32 v39, -1, v39, s[58:59]               // LDD clip if OOB. offset
/* (d1,vc1,d0,vc0)=(3,2,0,0) */
_v_add_co_u32 v33, vcc, v33, 1                     // coord1.1: coord1Vgpr += d1*sg1*VW + vc1

/* Fix for UseInitialStridesCD, emitAddressSetupCode */
_v_add_u32 v34, v34, s[sgprStrideC1J]              // ROWINC- Move cinRowPtr to next row
_v_add_u32 v35, v35, s[sgprStrideD1J]              // Move coutRowPtr to next row
	;; [unrolled: 11-line block ×3, first 2 shown]
v_cmp_lt_u32 s[54:55], v32, s[sgprSizeI]           // coord0 < size0
v_cmp_lt_u32 s[58:59], v33, s[sgprSizeJ]           // coord1 < size1
s_and_b64 s[58:59], s[54:55], s[58:59]             // in0 && in1
_v_add_lshl_u32 v45, v35, v32, 0x3                 // scaleToBpe: accumulate d0 lower and *= bpe into Cin addr
v_cndmask_b32 v45, -1, v45, s[58:59]               // LDD clip if OOB. offset

/* rC *= alpha batchElements=[(3, 0, 0, 0), (3, 0, 1, 0), (3, 0, 2, 0), (3, 0, 3, 0)] */
v_mul_f32 v36, s[sgprAlpha+0], v[vgprValuC+12] // 
v_mul_f32 v37, s[sgprAlpha+1], v[vgprValuC+12] // 
v_fma_f32 v[vgprValuC+40], s[sgprAlpha+1], -v[vgprValuC+28], v36
v_fma_f32 v[vgprValuC+40 +1], s[sgprAlpha+0], v[vgprValuC+28], v37
v_mul_f32 v36, s[sgprAlpha+0], v[vgprValuC+13] // 
v_mul_f32 v37, s[sgprAlpha+1], v[vgprValuC+13] // 
v_fma_f32 v[vgprValuC+42], s[sgprAlpha+1], -v[vgprValuC+29], v36
v_fma_f32 v[vgprValuC+42 +1], s[sgprAlpha+0], v[vgprValuC+29], v37
	;; [unrolled: 4-line block ×4, first 2 shown]

/* apply mask, calc new C and issue writes */
_buffer_store_b64 v[40:41], v38, s[sgprSrdD:sgprSrdD+3], 0, offen, offset:0 // store D
_buffer_store_b64 v[42:43], v39, s[sgprSrdD:sgprSrdD+3], 0, offen, offset:0 // store D
	;; [unrolled: 1-line block ×4, first 2 shown]
s_nop 0                                            // 1 wait state required when next inst writes vgprs held by previous dwordx4 store inst
s_branch label_GW_End_44                           // jump to end
GW_Beta_45:
s_and_b32 s54, 63, s[sgprSizeI]                    // s54 = s[sgprSizeI] % 64
s_add_u32 s55, -0x1, s[sgprNumWorkGroups0]         // 
s_cmp_ge_u32 s[sgprWorkGroup0], s55                // wg0 >= nwg0-1 ?
s_cselect_b32 s54, s54, 0                          // set rMT0
s_cmpk_gt_u32 s54, 0x0                             // rMT0 > 0
s_cbranch_scc1 GW_B1_E1_43                         // jump if edges required
s_and_b32 s54, 63, s[sgprSizeJ]                    // s54 = s[sgprSizeJ] % 64
s_add_u32 s55, -0x1, s[sgprNumWorkGroups1]         // 
s_cmp_ge_u32 s[sgprWorkGroup1], s55                // wg1 >= nwg1-1
s_cselect_b32 s54, s54, 0                          // set rMT1
s_cmpk_gt_u32 s54, 0x0                             // rMT1 > 0
s_cbranch_scc1 GW_B1_E1_43                         // jump if edges required
GW_B1_E0_40:

/* edge=0, allocate 2 sgpr. perBatchTmpS=2 perBatchMaskS=0 perElementMaskS=0 elementsPerBatch=4 */
/* optSingleColVgpr=1 optSharedColVgpr=0 optSGPRUsage=BufferLoad_Mask optSrdIncForRow=1 */

/******************************************/
/* Global Write Alpha Beta Batch #0 (d1,d0,vc1,vc0) = */
/*    (0,0,0,0:vw1); (0,0,1,0:vw1); (0,0,2,0:vw1); (0,0,3,0:vw1) */
/******************************************/

/* calc coords, apply mask, and issue loads (if necessary) */
/* (d1,vc1,d0,vc0)=(0,0,0,0) */
_v_add_lshl_u32 v39, v34, v32, 0x3                 // optSingleColVgpr scaleToBpe: sharedAddrVgpr <- cinRowPtr + coord0, scaled by BPE. BSHERE:coord0=32, coord0Vgpr=32
_buffer_load_b64 v[40:41], v39, s[sgprSrdC:sgprSrdC+3], 0, offen offset:0 // load C for beta calc
/* (d1,vc1,d0,vc0)=(0,1,0,0) */
s_lshl_b32  s34, s[sgprStrideC1J], 3               // incToNextRow: Scale by BPE
s_add_u32  s[sgprSrdC+0], s[sgprSrdC+0], s34       // incToNextRow: gra SRD += inc(lower)
s_addc_u32  s[sgprSrdC+1], s[sgprSrdC+1], 0        // incToNextRow: gra SRD += inc(upper)
_buffer_load_b64 v[44:45], v39, s[sgprSrdC:sgprSrdC+3], 0, offen offset:0 // load C for beta calc
/* (d1,vc1,d0,vc0)=(0,2,0,0) */
s_lshl_b32  s34, s[sgprStrideC1J], 3               // incToNextRow: Scale by BPE
s_add_u32  s[sgprSrdC+0], s[sgprSrdC+0], s34       // incToNextRow: gra SRD += inc(lower)
s_addc_u32  s[sgprSrdC+1], s[sgprSrdC+1], 0        // incToNextRow: gra SRD += inc(upper)
	;; [unrolled: 5-line block ×3, first 2 shown]
_buffer_load_b64 v[52:53], v39, s[sgprSrdC:sgprSrdC+3], 0, offen offset:0 // load C for beta calc
_v_add_lshl_u32 v38, v35, v32, 0x3                 // optSingleColVgpr scaleToBpe: sharedAddrVgpr <- cinRowPtr + coord0, scaled by BPE. BSHERE:coord0=32, coord0Vgpr=32

/* rC *= alpha batchElements=[(0, 0, 0, 0), (0, 0, 1, 0), (0, 0, 2, 0), (0, 0, 3, 0)] */
v_mul_f32 v36, s[sgprAlpha+0], v[vgprValuC+0] // 
v_mul_f32 v37, s[sgprAlpha+1], v[vgprValuC+0] // 
v_fma_f32 v[vgprValuC+42], s[sgprAlpha+1], -v[vgprValuC+16], v36
v_fma_f32 v[vgprValuC+42 +1], s[sgprAlpha+0], v[vgprValuC+16], v37
v_mul_f32 v36, s[sgprAlpha+0], v[vgprValuC+1] // 
v_mul_f32 v37, s[sgprAlpha+1], v[vgprValuC+1] // 
v_fma_f32 v[vgprValuC+46], s[sgprAlpha+1], -v[vgprValuC+17], v36
v_fma_f32 v[vgprValuC+46 +1], s[sgprAlpha+0], v[vgprValuC+17], v37
	;; [unrolled: 4-line block ×4, first 2 shown]

/* apply mask, calc new C and issue writes */

s_waitcnt vmcnt(3)                                 // wait C (interleaved) 3 = 4 - 0 + 0 - 1
_v_mac_f32 v[vgprValuC+42], v40, s[sgprBeta]       // finalSum Cr += old Cr * Br
_v_mac_f32 v[vgprValuC+42], v41, -s[sgprBeta+1]    // finalSum Cr += old Ci * -Bi
_v_mac_f32 v[vgprValuC+43], v41, s[sgprBeta]       // finalSum Ci += old Ci * Br
_v_mac_f32 v[vgprValuC+43], v40, s[sgprBeta+1]     // finalSum Ci += old Cr * Bi
_buffer_store_b64 v[42:43], v38, s[sgprSrdD:sgprSrdD+3], 0, offen, offset:0 // store D

s_waitcnt vmcnt(3)                                 // wait C (interleaved) 3 = 4 - 1 + 1 - 1
_v_mac_f32 v[vgprValuC+46], v44, s[sgprBeta]       // finalSum Cr += old Cr * Br
_v_mac_f32 v[vgprValuC+46], v45, -s[sgprBeta+1]    // finalSum Cr += old Ci * -Bi
_v_mac_f32 v[vgprValuC+47], v45, s[sgprBeta]       // finalSum Ci += old Ci * Br
_v_mac_f32 v[vgprValuC+47], v44, s[sgprBeta+1]     // finalSum Ci += old Cr * Bi
s_lshl_b32  s34, s[sgprStrideD1J], 3               // incToNextRow: Scale by BPE
s_add_u32  s[sgprSrdD+0], s[sgprSrdD+0], s34       // incToNextRow: gra SRD += inc(lower)
s_addc_u32  s[sgprSrdD+1], s[sgprSrdD+1], 0        // incToNextRow: gra SRD += inc(upper)
_buffer_store_b64 v[46:47], v38, s[sgprSrdD:sgprSrdD+3], 0, offen, offset:0 // store D

s_waitcnt vmcnt(3)                                 // wait C (interleaved) 3 = 4 - 2 + 2 - 1
_v_mac_f32 v[vgprValuC+50], v48, s[sgprBeta]       // finalSum Cr += old Cr * Br
_v_mac_f32 v[vgprValuC+50], v49, -s[sgprBeta+1]    // finalSum Cr += old Ci * -Bi
_v_mac_f32 v[vgprValuC+51], v49, s[sgprBeta]       // finalSum Ci += old Ci * Br
_v_mac_f32 v[vgprValuC+51], v48, s[sgprBeta+1]     // finalSum Ci += old Cr * Bi
s_lshl_b32  s34, s[sgprStrideD1J], 3               // incToNextRow: Scale by BPE
s_add_u32  s[sgprSrdD+0], s[sgprSrdD+0], s34       // incToNextRow: gra SRD += inc(lower)
s_addc_u32  s[sgprSrdD+1], s[sgprSrdD+1], 0        // incToNextRow: gra SRD += inc(upper)
_buffer_store_b64 v[50:51], v38, s[sgprSrdD:sgprSrdD+3], 0, offen, offset:0 // store D

s_waitcnt vmcnt(3)                                 // wait C (interleaved) 3 = 4 - 3 + 3 - 1
_v_mac_f32 v[vgprValuC+54], v52, s[sgprBeta]       // finalSum Cr += old Cr * Br
_v_mac_f32 v[vgprValuC+54], v53, -s[sgprBeta+1]    // finalSum Cr += old Ci * -Bi
_v_mac_f32 v[vgprValuC+55], v53, s[sgprBeta]       // finalSum Ci += old Ci * Br
_v_mac_f32 v[vgprValuC+55], v52, s[sgprBeta+1]     // finalSum Ci += old Cr * Bi
s_lshl_b32  s34, s[sgprStrideD1J], 3               // incToNextRow: Scale by BPE
s_add_u32  s[sgprSrdD+0], s[sgprSrdD+0], s34       // incToNextRow: gra SRD += inc(lower)
s_addc_u32  s[sgprSrdD+1], s[sgprSrdD+1], 0        // incToNextRow: gra SRD += inc(upper)
_buffer_store_b64 v[54:55], v38, s[sgprSrdD:sgprSrdD+3], 0, offen, offset:0 // store D
s_nop 0                                            // 1 wait state required when next inst writes vgprs held by previous dwordx4 store inst
/* optSingleColVgpr=1 optSharedColVgpr=0 optSGPRUsage=BufferLoad_Mask optSrdIncForRow=1 */

/******************************************/
/* Global Write Alpha Beta Batch #1 (d1,d0,vc1,vc0) = */
/*    (1,0,0,0:vw1); (1,0,1,0:vw1); (1,0,2,0:vw1); (1,0,3,0:vw1) */
/******************************************/

/* calc coords, apply mask, and issue loads (if necessary) */
/* (d1,vc1,d0,vc0)=(1,0,0,0) */
s_mul_i32 s34, s[sgprStrideC1J], 104               // scale StrideC *= numRows(13) * bpe
s_add_u32  s[sgprSrdC+0], s[sgprSrdC+0], s34       // incToNextRow: gra SRD += inc(lower)
s_addc_u32  s[sgprSrdC+1], s[sgprSrdC+1], 0        // incToNextRow: gra SRD += inc(upper)
_buffer_load_b64 v[40:41], v39, s[sgprSrdC:sgprSrdC+3], 0, offen offset:0 // load C for beta calc
/* (d1,vc1,d0,vc0)=(1,1,0,0) */
s_lshl_b32  s34, s[sgprStrideC1J], 3               // incToNextRow: Scale by BPE
s_add_u32  s[sgprSrdC+0], s[sgprSrdC+0], s34       // incToNextRow: gra SRD += inc(lower)
s_addc_u32  s[sgprSrdC+1], s[sgprSrdC+1], 0        // incToNextRow: gra SRD += inc(upper)
_buffer_load_b64 v[44:45], v39, s[sgprSrdC:sgprSrdC+3], 0, offen offset:0 // load C for beta calc
/* (d1,vc1,d0,vc0)=(1,2,0,0) */
s_lshl_b32  s34, s[sgprStrideC1J], 3               // incToNextRow: Scale by BPE
	;; [unrolled: 5-line block ×3, first 2 shown]
s_add_u32  s[sgprSrdC+0], s[sgprSrdC+0], s34       // incToNextRow: gra SRD += inc(lower)
s_addc_u32  s[sgprSrdC+1], s[sgprSrdC+1], 0        // incToNextRow: gra SRD += inc(upper)
_buffer_load_b64 v[52:53], v39, s[sgprSrdC:sgprSrdC+3], 0, offen offset:0 // load C for beta calc

/* rC *= alpha batchElements=[(1, 0, 0, 0), (1, 0, 1, 0), (1, 0, 2, 0), (1, 0, 3, 0)] */
v_mul_f32 v36, s[sgprAlpha+0], v[vgprValuC+4] // 
v_mul_f32 v37, s[sgprAlpha+1], v[vgprValuC+4] // 
v_fma_f32 v[vgprValuC+42], s[sgprAlpha+1], -v[vgprValuC+20], v36
v_fma_f32 v[vgprValuC+42 +1], s[sgprAlpha+0], v[vgprValuC+20], v37
v_mul_f32 v36, s[sgprAlpha+0], v[vgprValuC+5] // 
v_mul_f32 v37, s[sgprAlpha+1], v[vgprValuC+5] // 
v_fma_f32 v[vgprValuC+46], s[sgprAlpha+1], -v[vgprValuC+21], v36
v_fma_f32 v[vgprValuC+46 +1], s[sgprAlpha+0], v[vgprValuC+21], v37
v_mul_f32 v36, s[sgprAlpha+0], v[vgprValuC+6] // 
v_mul_f32 v37, s[sgprAlpha+1], v[vgprValuC+6] // 
v_fma_f32 v[vgprValuC+50], s[sgprAlpha+1], -v[vgprValuC+22], v36
v_fma_f32 v[vgprValuC+50 +1], s[sgprAlpha+0], v[vgprValuC+22], v37
v_mul_f32 v36, s[sgprAlpha+0], v[vgprValuC+7] // 
v_mul_f32 v37, s[sgprAlpha+1], v[vgprValuC+7] // 
v_fma_f32 v[vgprValuC+54], s[sgprAlpha+1], -v[vgprValuC+23], v36
v_fma_f32 v[vgprValuC+54 +1], s[sgprAlpha+0], v[vgprValuC+23], v37

/* apply mask, calc new C and issue writes */

s_waitcnt vmcnt(3)                                 // wait C (interleaved) 3 = 4 - 0 + 0 - 1
_v_mac_f32 v[vgprValuC+42], v40, s[sgprBeta]       // finalSum Cr += old Cr * Br
_v_mac_f32 v[vgprValuC+42], v41, -s[sgprBeta+1]    // finalSum Cr += old Ci * -Bi
_v_mac_f32 v[vgprValuC+43], v41, s[sgprBeta]       // finalSum Ci += old Ci * Br
_v_mac_f32 v[vgprValuC+43], v40, s[sgprBeta+1]     // finalSum Ci += old Cr * Bi
s_mul_i32 s34, s[sgprStrideD1J], 104               // scale StrideD *= numRows(13) * bpe
s_add_u32  s[sgprSrdD+0], s[sgprSrdD+0], s34       // incToNextRow: gra SRD += inc(lower)
s_addc_u32  s[sgprSrdD+1], s[sgprSrdD+1], 0        // incToNextRow: gra SRD += inc(upper)
_buffer_store_b64 v[42:43], v38, s[sgprSrdD:sgprSrdD+3], 0, offen, offset:0 // store D

s_waitcnt vmcnt(3)                                 // wait C (interleaved) 3 = 4 - 1 + 1 - 1
_v_mac_f32 v[vgprValuC+46], v44, s[sgprBeta]       // finalSum Cr += old Cr * Br
_v_mac_f32 v[vgprValuC+46], v45, -s[sgprBeta+1]    // finalSum Cr += old Ci * -Bi
_v_mac_f32 v[vgprValuC+47], v45, s[sgprBeta]       // finalSum Ci += old Ci * Br
_v_mac_f32 v[vgprValuC+47], v44, s[sgprBeta+1]     // finalSum Ci += old Cr * Bi
s_lshl_b32  s34, s[sgprStrideD1J], 3               // incToNextRow: Scale by BPE
s_add_u32  s[sgprSrdD+0], s[sgprSrdD+0], s34       // incToNextRow: gra SRD += inc(lower)
s_addc_u32  s[sgprSrdD+1], s[sgprSrdD+1], 0        // incToNextRow: gra SRD += inc(upper)
_buffer_store_b64 v[46:47], v38, s[sgprSrdD:sgprSrdD+3], 0, offen, offset:0 // store D

s_waitcnt vmcnt(3)                                 // wait C (interleaved) 3 = 4 - 2 + 2 - 1
_v_mac_f32 v[vgprValuC+50], v48, s[sgprBeta]       // finalSum Cr += old Cr * Br
_v_mac_f32 v[vgprValuC+50], v49, -s[sgprBeta+1]    // finalSum Cr += old Ci * -Bi
_v_mac_f32 v[vgprValuC+51], v49, s[sgprBeta]       // finalSum Ci += old Ci * Br
_v_mac_f32 v[vgprValuC+51], v48, s[sgprBeta+1]     // finalSum Ci += old Cr * Bi
s_lshl_b32  s34, s[sgprStrideD1J], 3               // incToNextRow: Scale by BPE
	;; [unrolled: 10-line block ×3, first 2 shown]
s_add_u32  s[sgprSrdD+0], s[sgprSrdD+0], s34       // incToNextRow: gra SRD += inc(lower)
s_addc_u32  s[sgprSrdD+1], s[sgprSrdD+1], 0        // incToNextRow: gra SRD += inc(upper)
_buffer_store_b64 v[54:55], v38, s[sgprSrdD:sgprSrdD+3], 0, offen, offset:0 // store D
s_nop 0                                            // 1 wait state required when next inst writes vgprs held by previous dwordx4 store inst
/* optSingleColVgpr=1 optSharedColVgpr=0 optSGPRUsage=BufferLoad_Mask optSrdIncForRow=1 */

/******************************************/
/* Global Write Alpha Beta Batch #2 (d1,d0,vc1,vc0) = */
/*    (2,0,0,0:vw1); (2,0,1,0:vw1); (2,0,2,0:vw1); (2,0,3,0:vw1) */
/******************************************/

/* calc coords, apply mask, and issue loads (if necessary) */
/* (d1,vc1,d0,vc0)=(2,0,0,0) */
s_mul_i32 s34, s[sgprStrideC1J], 104               // scale StrideC *= numRows(13) * bpe
s_add_u32  s[sgprSrdC+0], s[sgprSrdC+0], s34       // incToNextRow: gra SRD += inc(lower)
s_addc_u32  s[sgprSrdC+1], s[sgprSrdC+1], 0        // incToNextRow: gra SRD += inc(upper)
_buffer_load_b64 v[40:41], v39, s[sgprSrdC:sgprSrdC+3], 0, offen offset:0 // load C for beta calc
/* (d1,vc1,d0,vc0)=(2,1,0,0) */
s_lshl_b32  s34, s[sgprStrideC1J], 3               // incToNextRow: Scale by BPE
s_add_u32  s[sgprSrdC+0], s[sgprSrdC+0], s34       // incToNextRow: gra SRD += inc(lower)
s_addc_u32  s[sgprSrdC+1], s[sgprSrdC+1], 0        // incToNextRow: gra SRD += inc(upper)
_buffer_load_b64 v[44:45], v39, s[sgprSrdC:sgprSrdC+3], 0, offen offset:0 // load C for beta calc
/* (d1,vc1,d0,vc0)=(2,2,0,0) */
s_lshl_b32  s34, s[sgprStrideC1J], 3               // incToNextRow: Scale by BPE
	;; [unrolled: 5-line block ×3, first 2 shown]
s_add_u32  s[sgprSrdC+0], s[sgprSrdC+0], s34       // incToNextRow: gra SRD += inc(lower)
s_addc_u32  s[sgprSrdC+1], s[sgprSrdC+1], 0        // incToNextRow: gra SRD += inc(upper)
_buffer_load_b64 v[52:53], v39, s[sgprSrdC:sgprSrdC+3], 0, offen offset:0 // load C for beta calc

/* rC *= alpha batchElements=[(2, 0, 0, 0), (2, 0, 1, 0), (2, 0, 2, 0), (2, 0, 3, 0)] */
v_mul_f32 v36, s[sgprAlpha+0], v[vgprValuC+8] // 
v_mul_f32 v37, s[sgprAlpha+1], v[vgprValuC+8] // 
v_fma_f32 v[vgprValuC+42], s[sgprAlpha+1], -v[vgprValuC+24], v36
v_fma_f32 v[vgprValuC+42 +1], s[sgprAlpha+0], v[vgprValuC+24], v37
v_mul_f32 v36, s[sgprAlpha+0], v[vgprValuC+9] // 
v_mul_f32 v37, s[sgprAlpha+1], v[vgprValuC+9] // 
v_fma_f32 v[vgprValuC+46], s[sgprAlpha+1], -v[vgprValuC+25], v36
v_fma_f32 v[vgprValuC+46 +1], s[sgprAlpha+0], v[vgprValuC+25], v37
	;; [unrolled: 4-line block ×4, first 2 shown]

/* apply mask, calc new C and issue writes */

s_waitcnt vmcnt(3)                                 // wait C (interleaved) 3 = 4 - 0 + 0 - 1
_v_mac_f32 v[vgprValuC+42], v40, s[sgprBeta]       // finalSum Cr += old Cr * Br
_v_mac_f32 v[vgprValuC+42], v41, -s[sgprBeta+1]    // finalSum Cr += old Ci * -Bi
_v_mac_f32 v[vgprValuC+43], v41, s[sgprBeta]       // finalSum Ci += old Ci * Br
_v_mac_f32 v[vgprValuC+43], v40, s[sgprBeta+1]     // finalSum Ci += old Cr * Bi
s_mul_i32 s34, s[sgprStrideD1J], 104               // scale StrideD *= numRows(13) * bpe
s_add_u32  s[sgprSrdD+0], s[sgprSrdD+0], s34       // incToNextRow: gra SRD += inc(lower)
s_addc_u32  s[sgprSrdD+1], s[sgprSrdD+1], 0        // incToNextRow: gra SRD += inc(upper)
_buffer_store_b64 v[42:43], v38, s[sgprSrdD:sgprSrdD+3], 0, offen, offset:0 // store D

s_waitcnt vmcnt(3)                                 // wait C (interleaved) 3 = 4 - 1 + 1 - 1
_v_mac_f32 v[vgprValuC+46], v44, s[sgprBeta]       // finalSum Cr += old Cr * Br
_v_mac_f32 v[vgprValuC+46], v45, -s[sgprBeta+1]    // finalSum Cr += old Ci * -Bi
_v_mac_f32 v[vgprValuC+47], v45, s[sgprBeta]       // finalSum Ci += old Ci * Br
_v_mac_f32 v[vgprValuC+47], v44, s[sgprBeta+1]     // finalSum Ci += old Cr * Bi
s_lshl_b32  s34, s[sgprStrideD1J], 3               // incToNextRow: Scale by BPE
s_add_u32  s[sgprSrdD+0], s[sgprSrdD+0], s34       // incToNextRow: gra SRD += inc(lower)
s_addc_u32  s[sgprSrdD+1], s[sgprSrdD+1], 0        // incToNextRow: gra SRD += inc(upper)
_buffer_store_b64 v[46:47], v38, s[sgprSrdD:sgprSrdD+3], 0, offen, offset:0 // store D

s_waitcnt vmcnt(3)                                 // wait C (interleaved) 3 = 4 - 2 + 2 - 1
_v_mac_f32 v[vgprValuC+50], v48, s[sgprBeta]       // finalSum Cr += old Cr * Br
_v_mac_f32 v[vgprValuC+50], v49, -s[sgprBeta+1]    // finalSum Cr += old Ci * -Bi
_v_mac_f32 v[vgprValuC+51], v49, s[sgprBeta]       // finalSum Ci += old Ci * Br
_v_mac_f32 v[vgprValuC+51], v48, s[sgprBeta+1]     // finalSum Ci += old Cr * Bi
s_lshl_b32  s34, s[sgprStrideD1J], 3               // incToNextRow: Scale by BPE
	;; [unrolled: 10-line block ×3, first 2 shown]
s_add_u32  s[sgprSrdD+0], s[sgprSrdD+0], s34       // incToNextRow: gra SRD += inc(lower)
s_addc_u32  s[sgprSrdD+1], s[sgprSrdD+1], 0        // incToNextRow: gra SRD += inc(upper)
_buffer_store_b64 v[54:55], v38, s[sgprSrdD:sgprSrdD+3], 0, offen, offset:0 // store D
s_nop 0                                            // 1 wait state required when next inst writes vgprs held by previous dwordx4 store inst
/* optSingleColVgpr=1 optSharedColVgpr=0 optSGPRUsage=BufferLoad_Mask optSrdIncForRow=1 */

/******************************************/
/* Global Write Alpha Beta Batch #3 (d1,d0,vc1,vc0) = */
/*    (3,0,0,0:vw1); (3,0,1,0:vw1); (3,0,2,0:vw1); (3,0,3,0:vw1) */
/******************************************/

/* calc coords, apply mask, and issue loads (if necessary) */
/* (d1,vc1,d0,vc0)=(3,0,0,0) */
s_mul_i32 s34, s[sgprStrideC1J], 104               // scale StrideC *= numRows(13) * bpe
s_add_u32  s[sgprSrdC+0], s[sgprSrdC+0], s34       // incToNextRow: gra SRD += inc(lower)
s_addc_u32  s[sgprSrdC+1], s[sgprSrdC+1], 0        // incToNextRow: gra SRD += inc(upper)
_buffer_load_b64 v[40:41], v39, s[sgprSrdC:sgprSrdC+3], 0, offen offset:0 // load C for beta calc
/* (d1,vc1,d0,vc0)=(3,1,0,0) */
s_lshl_b32  s34, s[sgprStrideC1J], 3               // incToNextRow: Scale by BPE
s_add_u32  s[sgprSrdC+0], s[sgprSrdC+0], s34       // incToNextRow: gra SRD += inc(lower)
s_addc_u32  s[sgprSrdC+1], s[sgprSrdC+1], 0        // incToNextRow: gra SRD += inc(upper)
_buffer_load_b64 v[44:45], v39, s[sgprSrdC:sgprSrdC+3], 0, offen offset:0 // load C for beta calc
/* (d1,vc1,d0,vc0)=(3,2,0,0) */
s_lshl_b32  s34, s[sgprStrideC1J], 3               // incToNextRow: Scale by BPE
	;; [unrolled: 5-line block ×3, first 2 shown]
s_add_u32  s[sgprSrdC+0], s[sgprSrdC+0], s34       // incToNextRow: gra SRD += inc(lower)
s_addc_u32  s[sgprSrdC+1], s[sgprSrdC+1], 0        // incToNextRow: gra SRD += inc(upper)
_buffer_load_b64 v[52:53], v39, s[sgprSrdC:sgprSrdC+3], 0, offen offset:0 // load C for beta calc

/* rC *= alpha batchElements=[(3, 0, 0, 0), (3, 0, 1, 0), (3, 0, 2, 0), (3, 0, 3, 0)] */
v_mul_f32 v36, s[sgprAlpha+0], v[vgprValuC+12] // 
v_mul_f32 v37, s[sgprAlpha+1], v[vgprValuC+12] // 
v_fma_f32 v[vgprValuC+42], s[sgprAlpha+1], -v[vgprValuC+28], v36
v_fma_f32 v[vgprValuC+42 +1], s[sgprAlpha+0], v[vgprValuC+28], v37
v_mul_f32 v36, s[sgprAlpha+0], v[vgprValuC+13] // 
v_mul_f32 v37, s[sgprAlpha+1], v[vgprValuC+13] // 
v_fma_f32 v[vgprValuC+46], s[sgprAlpha+1], -v[vgprValuC+29], v36
v_fma_f32 v[vgprValuC+46 +1], s[sgprAlpha+0], v[vgprValuC+29], v37
	;; [unrolled: 4-line block ×4, first 2 shown]

/* apply mask, calc new C and issue writes */

s_waitcnt vmcnt(3)                                 // wait C (interleaved) 3 = 4 - 0 + 0 - 1
_v_mac_f32 v[vgprValuC+42], v40, s[sgprBeta]       // finalSum Cr += old Cr * Br
_v_mac_f32 v[vgprValuC+42], v41, -s[sgprBeta+1]    // finalSum Cr += old Ci * -Bi
_v_mac_f32 v[vgprValuC+43], v41, s[sgprBeta]       // finalSum Ci += old Ci * Br
_v_mac_f32 v[vgprValuC+43], v40, s[sgprBeta+1]     // finalSum Ci += old Cr * Bi
s_mul_i32 s34, s[sgprStrideD1J], 104               // scale StrideD *= numRows(13) * bpe
s_add_u32  s[sgprSrdD+0], s[sgprSrdD+0], s34       // incToNextRow: gra SRD += inc(lower)
s_addc_u32  s[sgprSrdD+1], s[sgprSrdD+1], 0        // incToNextRow: gra SRD += inc(upper)
_buffer_store_b64 v[42:43], v38, s[sgprSrdD:sgprSrdD+3], 0, offen, offset:0 // store D

s_waitcnt vmcnt(3)                                 // wait C (interleaved) 3 = 4 - 1 + 1 - 1
_v_mac_f32 v[vgprValuC+46], v44, s[sgprBeta]       // finalSum Cr += old Cr * Br
_v_mac_f32 v[vgprValuC+46], v45, -s[sgprBeta+1]    // finalSum Cr += old Ci * -Bi
_v_mac_f32 v[vgprValuC+47], v45, s[sgprBeta]       // finalSum Ci += old Ci * Br
_v_mac_f32 v[vgprValuC+47], v44, s[sgprBeta+1]     // finalSum Ci += old Cr * Bi
s_lshl_b32  s34, s[sgprStrideD1J], 3               // incToNextRow: Scale by BPE
s_add_u32  s[sgprSrdD+0], s[sgprSrdD+0], s34       // incToNextRow: gra SRD += inc(lower)
s_addc_u32  s[sgprSrdD+1], s[sgprSrdD+1], 0        // incToNextRow: gra SRD += inc(upper)
_buffer_store_b64 v[46:47], v38, s[sgprSrdD:sgprSrdD+3], 0, offen, offset:0 // store D

s_waitcnt vmcnt(3)                                 // wait C (interleaved) 3 = 4 - 2 + 2 - 1
_v_mac_f32 v[vgprValuC+50], v48, s[sgprBeta]       // finalSum Cr += old Cr * Br
_v_mac_f32 v[vgprValuC+50], v49, -s[sgprBeta+1]    // finalSum Cr += old Ci * -Bi
_v_mac_f32 v[vgprValuC+51], v49, s[sgprBeta]       // finalSum Ci += old Ci * Br
_v_mac_f32 v[vgprValuC+51], v48, s[sgprBeta+1]     // finalSum Ci += old Cr * Bi
s_lshl_b32  s34, s[sgprStrideD1J], 3               // incToNextRow: Scale by BPE
	;; [unrolled: 10-line block ×3, first 2 shown]
s_add_u32  s[sgprSrdD+0], s[sgprSrdD+0], s34       // incToNextRow: gra SRD += inc(lower)
s_addc_u32  s[sgprSrdD+1], s[sgprSrdD+1], 0        // incToNextRow: gra SRD += inc(upper)
_buffer_store_b64 v[54:55], v38, s[sgprSrdD:sgprSrdD+3], 0, offen, offset:0 // store D
s_nop 0                                            // 1 wait state required when next inst writes vgprs held by previous dwordx4 store inst
s_branch label_GW_End_44                           // jump to end
GW_B1_E1_43:

/* edge=1, allocate 6 sgpr. perBatchTmpS=4 perBatchMaskS=2 perElementMaskS=0 elementsPerBatch=4 */
/* optSingleColVgpr=0 optSharedColVgpr=0 optSGPRUsage=BufferLoad_Edge_Mask optSrdIncForRow=0 */

/******************************************/
/* Global Write Alpha Beta Edge Batch #0 (d1,d0,vc1,vc0) = */
/*    (0,0,0,0:vw1); (0,0,1,0:vw1); (0,0,2,0:vw1); (0,0,3,0:vw1) */
/******************************************/

/* calc coords, apply mask, and issue loads (if necessary) */
/* (d1,vc1,d0,vc0)=(0,0,0,0) */
v_cmp_lt_u32 s[54:55], v32, s[sgprSizeI]           // coord0 < size0
v_cmp_lt_u32 s[58:59], v33, s[sgprSizeJ]           // coord1 < size1
s_and_b64 s[58:59], s[54:55], s[58:59]             // in0 && in1
_v_add_lshl_u32 v38, v34, v32, 0x3                 // scaleToBpe: accumulate d0 lower and *= bpe into Cin addr
v_cndmask_b32 v38, -1, v38, s[58:59]               // LDC clip if OOB. offset
_buffer_load_b64 v[40:41], v38, s[sgprSrdC:sgprSrdC+3], 0, offen offset:0 // load C for beta calc
_v_add_lshl_u32 v38, v35, v32, 0x3                 // scaleToBpe: accumulate d0 lower and *= bpe into Cin addr
v_cndmask_b32 v38, -1, v38, s[58:59]               // LDD clip if OOB. offset
/* (d1,vc1,d0,vc0)=(0,1,0,0) */
_v_add_co_u32 v33, vcc, v33, 1                     // coord1.1: coord1Vgpr += d1*sg1*VW + vc1

/* Fix for UseInitialStridesCD, emitAddressSetupCode */
_v_add_u32 v34, v34, s[sgprStrideC1J]              // ROWINC- Move cinRowPtr to next row
_v_add_u32 v35, v35, s[sgprStrideD1J]              // Move coutRowPtr to next row
v_cmp_lt_u32 s[54:55], v32, s[sgprSizeI]           // coord0 < size0
v_cmp_lt_u32 s[58:59], v33, s[sgprSizeJ]           // coord1 < size1
s_and_b64 s[58:59], s[54:55], s[58:59]             // in0 && in1
_v_add_lshl_u32 v39, v34, v32, 0x3                 // scaleToBpe: accumulate d0 lower and *= bpe into Cin addr
v_cndmask_b32 v39, -1, v39, s[58:59]               // LDC clip if OOB. offset
_buffer_load_b64 v[44:45], v39, s[sgprSrdC:sgprSrdC+3], 0, offen offset:0 // load C for beta calc
_v_add_lshl_u32 v39, v35, v32, 0x3                 // scaleToBpe: accumulate d0 lower and *= bpe into Cin addr
v_cndmask_b32 v39, -1, v39, s[58:59]               // LDD clip if OOB. offset
/* (d1,vc1,d0,vc0)=(0,2,0,0) */
_v_add_co_u32 v33, vcc, v33, 1                     // coord1.1: coord1Vgpr += d1*sg1*VW + vc1

/* Fix for UseInitialStridesCD, emitAddressSetupCode */
_v_add_u32 v34, v34, s[sgprStrideC1J]              // ROWINC- Move cinRowPtr to next row
_v_add_u32 v35, v35, s[sgprStrideD1J]              // Move coutRowPtr to next row
	;; [unrolled: 14-line block ×3, first 2 shown]
v_cmp_lt_u32 s[54:55], v32, s[sgprSizeI]           // coord0 < size0
v_cmp_lt_u32 s[58:59], v33, s[sgprSizeJ]           // coord1 < size1
s_and_b64 s[58:59], s[54:55], s[58:59]             // in0 && in1
_v_add_lshl_u32 v49, v34, v32, 0x3                 // scaleToBpe: accumulate d0 lower and *= bpe into Cin addr
v_cndmask_b32 v49, -1, v49, s[58:59]               // LDC clip if OOB. offset
_buffer_load_b64 v[54:55], v49, s[sgprSrdC:sgprSrdC+3], 0, offen offset:0 // load C for beta calc
_v_add_lshl_u32 v49, v35, v32, 0x3                 // scaleToBpe: accumulate d0 lower and *= bpe into Cin addr
v_cndmask_b32 v49, -1, v49, s[58:59]               // LDD clip if OOB. offset

/* rC *= alpha batchElements=[(0, 0, 0, 0), (0, 0, 1, 0), (0, 0, 2, 0), (0, 0, 3, 0)] */
v_mul_f32 v36, s[sgprAlpha+0], v[vgprValuC+0] // 
v_mul_f32 v37, s[sgprAlpha+1], v[vgprValuC+0] // 
v_fma_f32 v[vgprValuC+42], s[sgprAlpha+1], -v[vgprValuC+16], v36
v_fma_f32 v[vgprValuC+42 +1], s[sgprAlpha+0], v[vgprValuC+16], v37
v_mul_f32 v36, s[sgprAlpha+0], v[vgprValuC+1] // 
v_mul_f32 v37, s[sgprAlpha+1], v[vgprValuC+1] // 
v_fma_f32 v[vgprValuC+46], s[sgprAlpha+1], -v[vgprValuC+17], v36
v_fma_f32 v[vgprValuC+46 +1], s[sgprAlpha+0], v[vgprValuC+17], v37
	;; [unrolled: 4-line block ×4, first 2 shown]
s_waitcnt vmcnt(0)                                 // wait C

/* apply mask, calc new C and issue writes */
_v_mac_f32 v[vgprValuC+42], v40, s[sgprBeta]       // finalSum Cr += old Cr * Br
_v_mac_f32 v[vgprValuC+42], v41, -s[sgprBeta+1]    // finalSum Cr += old Ci * -Bi
_v_mac_f32 v[vgprValuC+43], v41, s[sgprBeta]       // finalSum Ci += old Ci * Br
_v_mac_f32 v[vgprValuC+43], v40, s[sgprBeta+1]     // finalSum Ci += old Cr * Bi
_buffer_store_b64 v[42:43], v38, s[sgprSrdD:sgprSrdD+3], 0, offen, offset:0 // store D
_v_mac_f32 v[vgprValuC+46], v44, s[sgprBeta]       // finalSum Cr += old Cr * Br
_v_mac_f32 v[vgprValuC+46], v45, -s[sgprBeta+1]    // finalSum Cr += old Ci * -Bi
_v_mac_f32 v[vgprValuC+47], v45, s[sgprBeta]       // finalSum Ci += old Ci * Br
_v_mac_f32 v[vgprValuC+47], v44, s[sgprBeta+1]     // finalSum Ci += old Cr * Bi
_buffer_store_b64 v[46:47], v39, s[sgprSrdD:sgprSrdD+3], 0, offen, offset:0 // store D
	;; [unrolled: 5-line block ×4, first 2 shown]
s_nop 0                                            // 1 wait state required when next inst writes vgprs held by previous dwordx4 store inst
/* optSingleColVgpr=0 optSharedColVgpr=0 optSGPRUsage=BufferLoad_Edge_Mask optSrdIncForRow=0 */

/******************************************/
/* Global Write Alpha Beta Edge Batch #1 (d1,d0,vc1,vc0) = */
/*    (1,0,0,0:vw1); (1,0,1,0:vw1); (1,0,2,0:vw1); (1,0,3,0:vw1) */
/******************************************/

/* calc coords, apply mask, and issue loads (if necessary) */
/* (d1,vc1,d0,vc0)=(1,0,0,0) */
_v_add_co_u32 v33, vcc, v33, 13                    // coord1.1: coord1Vgpr += d1*sg1*VW + vc1

/* Fix for UseInitialStridesCD, emitAddressSetupCode */
s_mul_i32 s54, s[sgprStrideC1J], 13                // scale stride
_v_add_u32 v34, v34, s54                           // ROWINC- Move cinRowPtr to next row
s_mul_i32 s54, s[sgprStrideD1J], 13                // scale stride
_v_add_u32 v35, v35, s54                           // Move coutRowPtr to next row
v_cmp_lt_u32 s[54:55], v32, s[sgprSizeI]           // coord0 < size0
v_cmp_lt_u32 s[58:59], v33, s[sgprSizeJ]           // coord1 < size1
s_and_b64 s[58:59], s[54:55], s[58:59]             // in0 && in1
_v_add_lshl_u32 v38, v34, v32, 0x3                 // scaleToBpe: accumulate d0 lower and *= bpe into Cin addr
v_cndmask_b32 v38, -1, v38, s[58:59]               // LDC clip if OOB. offset
_buffer_load_b64 v[40:41], v38, s[sgprSrdC:sgprSrdC+3], 0, offen offset:0 // load C for beta calc
_v_add_lshl_u32 v38, v35, v32, 0x3                 // scaleToBpe: accumulate d0 lower and *= bpe into Cin addr
v_cndmask_b32 v38, -1, v38, s[58:59]               // LDD clip if OOB. offset
/* (d1,vc1,d0,vc0)=(1,1,0,0) */
_v_add_co_u32 v33, vcc, v33, 1                     // coord1.1: coord1Vgpr += d1*sg1*VW + vc1

/* Fix for UseInitialStridesCD, emitAddressSetupCode */
_v_add_u32 v34, v34, s[sgprStrideC1J]              // ROWINC- Move cinRowPtr to next row
_v_add_u32 v35, v35, s[sgprStrideD1J]              // Move coutRowPtr to next row
v_cmp_lt_u32 s[54:55], v32, s[sgprSizeI]           // coord0 < size0
v_cmp_lt_u32 s[58:59], v33, s[sgprSizeJ]           // coord1 < size1
s_and_b64 s[58:59], s[54:55], s[58:59]             // in0 && in1
_v_add_lshl_u32 v39, v34, v32, 0x3                 // scaleToBpe: accumulate d0 lower and *= bpe into Cin addr
v_cndmask_b32 v39, -1, v39, s[58:59]               // LDC clip if OOB. offset
_buffer_load_b64 v[44:45], v39, s[sgprSrdC:sgprSrdC+3], 0, offen offset:0 // load C for beta calc
_v_add_lshl_u32 v39, v35, v32, 0x3                 // scaleToBpe: accumulate d0 lower and *= bpe into Cin addr
v_cndmask_b32 v39, -1, v39, s[58:59]               // LDD clip if OOB. offset
/* (d1,vc1,d0,vc0)=(1,2,0,0) */
_v_add_co_u32 v33, vcc, v33, 1                     // coord1.1: coord1Vgpr += d1*sg1*VW + vc1

/* Fix for UseInitialStridesCD, emitAddressSetupCode */
_v_add_u32 v34, v34, s[sgprStrideC1J]              // ROWINC- Move cinRowPtr to next row
_v_add_u32 v35, v35, s[sgprStrideD1J]              // Move coutRowPtr to next row
	;; [unrolled: 14-line block ×3, first 2 shown]
v_cmp_lt_u32 s[54:55], v32, s[sgprSizeI]           // coord0 < size0
v_cmp_lt_u32 s[58:59], v33, s[sgprSizeJ]           // coord1 < size1
s_and_b64 s[58:59], s[54:55], s[58:59]             // in0 && in1
_v_add_lshl_u32 v49, v34, v32, 0x3                 // scaleToBpe: accumulate d0 lower and *= bpe into Cin addr
v_cndmask_b32 v49, -1, v49, s[58:59]               // LDC clip if OOB. offset
_buffer_load_b64 v[54:55], v49, s[sgprSrdC:sgprSrdC+3], 0, offen offset:0 // load C for beta calc
_v_add_lshl_u32 v49, v35, v32, 0x3                 // scaleToBpe: accumulate d0 lower and *= bpe into Cin addr
v_cndmask_b32 v49, -1, v49, s[58:59]               // LDD clip if OOB. offset

/* rC *= alpha batchElements=[(1, 0, 0, 0), (1, 0, 1, 0), (1, 0, 2, 0), (1, 0, 3, 0)] */
v_mul_f32 v36, s[sgprAlpha+0], v[vgprValuC+4] // 
v_mul_f32 v37, s[sgprAlpha+1], v[vgprValuC+4] // 
v_fma_f32 v[vgprValuC+42], s[sgprAlpha+1], -v[vgprValuC+20], v36
v_fma_f32 v[vgprValuC+42 +1], s[sgprAlpha+0], v[vgprValuC+20], v37
v_mul_f32 v36, s[sgprAlpha+0], v[vgprValuC+5] // 
v_mul_f32 v37, s[sgprAlpha+1], v[vgprValuC+5] // 
v_fma_f32 v[vgprValuC+46], s[sgprAlpha+1], -v[vgprValuC+21], v36
v_fma_f32 v[vgprValuC+46 +1], s[sgprAlpha+0], v[vgprValuC+21], v37
	;; [unrolled: 4-line block ×4, first 2 shown]
s_waitcnt vmcnt(0)                                 // wait C

/* apply mask, calc new C and issue writes */
_v_mac_f32 v[vgprValuC+42], v40, s[sgprBeta]       // finalSum Cr += old Cr * Br
_v_mac_f32 v[vgprValuC+42], v41, -s[sgprBeta+1]    // finalSum Cr += old Ci * -Bi
_v_mac_f32 v[vgprValuC+43], v41, s[sgprBeta]       // finalSum Ci += old Ci * Br
_v_mac_f32 v[vgprValuC+43], v40, s[sgprBeta+1]     // finalSum Ci += old Cr * Bi
_buffer_store_b64 v[42:43], v38, s[sgprSrdD:sgprSrdD+3], 0, offen, offset:0 // store D
_v_mac_f32 v[vgprValuC+46], v44, s[sgprBeta]       // finalSum Cr += old Cr * Br
_v_mac_f32 v[vgprValuC+46], v45, -s[sgprBeta+1]    // finalSum Cr += old Ci * -Bi
_v_mac_f32 v[vgprValuC+47], v45, s[sgprBeta]       // finalSum Ci += old Ci * Br
_v_mac_f32 v[vgprValuC+47], v44, s[sgprBeta+1]     // finalSum Ci += old Cr * Bi
_buffer_store_b64 v[46:47], v39, s[sgprSrdD:sgprSrdD+3], 0, offen, offset:0 // store D
	;; [unrolled: 5-line block ×4, first 2 shown]
s_nop 0                                            // 1 wait state required when next inst writes vgprs held by previous dwordx4 store inst
/* optSingleColVgpr=0 optSharedColVgpr=0 optSGPRUsage=BufferLoad_Edge_Mask optSrdIncForRow=0 */

/******************************************/
/* Global Write Alpha Beta Edge Batch #2 (d1,d0,vc1,vc0) = */
/*    (2,0,0,0:vw1); (2,0,1,0:vw1); (2,0,2,0:vw1); (2,0,3,0:vw1) */
/******************************************/

/* calc coords, apply mask, and issue loads (if necessary) */
/* (d1,vc1,d0,vc0)=(2,0,0,0) */
_v_add_co_u32 v33, vcc, v33, 13                    // coord1.1: coord1Vgpr += d1*sg1*VW + vc1

/* Fix for UseInitialStridesCD, emitAddressSetupCode */
s_mul_i32 s54, s[sgprStrideC1J], 13                // scale stride
_v_add_u32 v34, v34, s54                           // ROWINC- Move cinRowPtr to next row
s_mul_i32 s54, s[sgprStrideD1J], 13                // scale stride
_v_add_u32 v35, v35, s54                           // Move coutRowPtr to next row
v_cmp_lt_u32 s[54:55], v32, s[sgprSizeI]           // coord0 < size0
v_cmp_lt_u32 s[58:59], v33, s[sgprSizeJ]           // coord1 < size1
s_and_b64 s[58:59], s[54:55], s[58:59]             // in0 && in1
_v_add_lshl_u32 v38, v34, v32, 0x3                 // scaleToBpe: accumulate d0 lower and *= bpe into Cin addr
v_cndmask_b32 v38, -1, v38, s[58:59]               // LDC clip if OOB. offset
_buffer_load_b64 v[40:41], v38, s[sgprSrdC:sgprSrdC+3], 0, offen offset:0 // load C for beta calc
_v_add_lshl_u32 v38, v35, v32, 0x3                 // scaleToBpe: accumulate d0 lower and *= bpe into Cin addr
v_cndmask_b32 v38, -1, v38, s[58:59]               // LDD clip if OOB. offset
/* (d1,vc1,d0,vc0)=(2,1,0,0) */
_v_add_co_u32 v33, vcc, v33, 1                     // coord1.1: coord1Vgpr += d1*sg1*VW + vc1

/* Fix for UseInitialStridesCD, emitAddressSetupCode */
_v_add_u32 v34, v34, s[sgprStrideC1J]              // ROWINC- Move cinRowPtr to next row
_v_add_u32 v35, v35, s[sgprStrideD1J]              // Move coutRowPtr to next row
v_cmp_lt_u32 s[54:55], v32, s[sgprSizeI]           // coord0 < size0
v_cmp_lt_u32 s[58:59], v33, s[sgprSizeJ]           // coord1 < size1
s_and_b64 s[58:59], s[54:55], s[58:59]             // in0 && in1
_v_add_lshl_u32 v39, v34, v32, 0x3                 // scaleToBpe: accumulate d0 lower and *= bpe into Cin addr
v_cndmask_b32 v39, -1, v39, s[58:59]               // LDC clip if OOB. offset
_buffer_load_b64 v[44:45], v39, s[sgprSrdC:sgprSrdC+3], 0, offen offset:0 // load C for beta calc
_v_add_lshl_u32 v39, v35, v32, 0x3                 // scaleToBpe: accumulate d0 lower and *= bpe into Cin addr
v_cndmask_b32 v39, -1, v39, s[58:59]               // LDD clip if OOB. offset
/* (d1,vc1,d0,vc0)=(2,2,0,0) */
_v_add_co_u32 v33, vcc, v33, 1                     // coord1.1: coord1Vgpr += d1*sg1*VW + vc1

/* Fix for UseInitialStridesCD, emitAddressSetupCode */
_v_add_u32 v34, v34, s[sgprStrideC1J]              // ROWINC- Move cinRowPtr to next row
_v_add_u32 v35, v35, s[sgprStrideD1J]              // Move coutRowPtr to next row
v_cmp_lt_u32 s[54:55], v32, s[sgprSizeI]           // coord0 < size0
v_cmp_lt_u32 s[58:59], v33, s[sgprSizeJ]           // coord1 < size1
s_and_b64 s[58:59], s[54:55], s[58:59]             // in0 && in1
_v_add_lshl_u32 v48, v34, v32, 0x3                 // scaleToBpe: accumulate d0 lower and *= bpe into Cin addr
v_cndmask_b32 v48, -1, v48, s[58:59]               // LDC clip if OOB. offset
_buffer_load_b64 v[50:51], v48, s[sgprSrdC:sgprSrdC+3], 0, offen offset:0 // load C for beta calc
_v_add_lshl_u32 v48, v35, v32, 0x3                 // scaleToBpe: accumulate d0 lower and *= bpe into Cin addr
v_cndmask_b32 v48, -1, v48, s[58:59]               // LDD clip if OOB. offset
/* (d1,vc1,d0,vc0)=(2,3,0,0) */
_v_add_co_u32 v33, vcc, v33, 1                     // coord1.1: coord1Vgpr += d1*sg1*VW + vc1

/* Fix for UseInitialStridesCD, emitAddressSetupCode */
_v_add_u32 v34, v34, s[sgprStrideC1J]              // ROWINC- Move cinRowPtr to next row
_v_add_u32 v35, v35, s[sgprStrideD1J]              // Move coutRowPtr to next row
v_cmp_lt_u32 s[54:55], v32, s[sgprSizeI]           // coord0 < size0
v_cmp_lt_u32 s[58:59], v33, s[sgprSizeJ]           // coord1 < size1
s_and_b64 s[58:59], s[54:55], s[58:59]             // in0 && in1
_v_add_lshl_u32 v49, v34, v32, 0x3                 // scaleToBpe: accumulate d0 lower and *= bpe into Cin addr
v_cndmask_b32 v49, -1, v49, s[58:59]               // LDC clip if OOB. offset
_buffer_load_b64 v[54:55], v49, s[sgprSrdC:sgprSrdC+3], 0, offen offset:0 // load C for beta calc
_v_add_lshl_u32 v49, v35, v32, 0x3                 // scaleToBpe: accumulate d0 lower and *= bpe into Cin addr
v_cndmask_b32 v49, -1, v49, s[58:59]               // LDD clip if OOB. offset

/* rC *= alpha batchElements=[(2, 0, 0, 0), (2, 0, 1, 0), (2, 0, 2, 0), (2, 0, 3, 0)] */
v_mul_f32 v36, s[sgprAlpha+0], v[vgprValuC+8] // 
v_mul_f32 v37, s[sgprAlpha+1], v[vgprValuC+8] // 
v_fma_f32 v[vgprValuC+42], s[sgprAlpha+1], -v[vgprValuC+24], v36
v_fma_f32 v[vgprValuC+42 +1], s[sgprAlpha+0], v[vgprValuC+24], v37
v_mul_f32 v36, s[sgprAlpha+0], v[vgprValuC+9] // 
v_mul_f32 v37, s[sgprAlpha+1], v[vgprValuC+9] // 
v_fma_f32 v[vgprValuC+46], s[sgprAlpha+1], -v[vgprValuC+25], v36
v_fma_f32 v[vgprValuC+46 +1], s[sgprAlpha+0], v[vgprValuC+25], v37
	;; [unrolled: 4-line block ×4, first 2 shown]
s_waitcnt vmcnt(0)                                 // wait C

/* apply mask, calc new C and issue writes */
_v_mac_f32 v[vgprValuC+42], v40, s[sgprBeta]       // finalSum Cr += old Cr * Br
_v_mac_f32 v[vgprValuC+42], v41, -s[sgprBeta+1]    // finalSum Cr += old Ci * -Bi
_v_mac_f32 v[vgprValuC+43], v41, s[sgprBeta]       // finalSum Ci += old Ci * Br
_v_mac_f32 v[vgprValuC+43], v40, s[sgprBeta+1]     // finalSum Ci += old Cr * Bi
_buffer_store_b64 v[42:43], v38, s[sgprSrdD:sgprSrdD+3], 0, offen, offset:0 // store D
_v_mac_f32 v[vgprValuC+46], v44, s[sgprBeta]       // finalSum Cr += old Cr * Br
_v_mac_f32 v[vgprValuC+46], v45, -s[sgprBeta+1]    // finalSum Cr += old Ci * -Bi
_v_mac_f32 v[vgprValuC+47], v45, s[sgprBeta]       // finalSum Ci += old Ci * Br
_v_mac_f32 v[vgprValuC+47], v44, s[sgprBeta+1]     // finalSum Ci += old Cr * Bi
_buffer_store_b64 v[46:47], v39, s[sgprSrdD:sgprSrdD+3], 0, offen, offset:0 // store D
	;; [unrolled: 5-line block ×4, first 2 shown]
s_nop 0                                            // 1 wait state required when next inst writes vgprs held by previous dwordx4 store inst
/* optSingleColVgpr=0 optSharedColVgpr=0 optSGPRUsage=BufferLoad_Edge_Mask optSrdIncForRow=0 */

/******************************************/
/* Global Write Alpha Beta Edge Batch #3 (d1,d0,vc1,vc0) = */
/*    (3,0,0,0:vw1); (3,0,1,0:vw1); (3,0,2,0:vw1); (3,0,3,0:vw1) */
/******************************************/

/* calc coords, apply mask, and issue loads (if necessary) */
/* (d1,vc1,d0,vc0)=(3,0,0,0) */
_v_add_co_u32 v33, vcc, v33, 13                    // coord1.1: coord1Vgpr += d1*sg1*VW + vc1

/* Fix for UseInitialStridesCD, emitAddressSetupCode */
s_mul_i32 s54, s[sgprStrideC1J], 13                // scale stride
_v_add_u32 v34, v34, s54                           // ROWINC- Move cinRowPtr to next row
s_mul_i32 s54, s[sgprStrideD1J], 13                // scale stride
_v_add_u32 v35, v35, s54                           // Move coutRowPtr to next row
v_cmp_lt_u32 s[54:55], v32, s[sgprSizeI]           // coord0 < size0
v_cmp_lt_u32 s[58:59], v33, s[sgprSizeJ]           // coord1 < size1
s_and_b64 s[58:59], s[54:55], s[58:59]             // in0 && in1
_v_add_lshl_u32 v38, v34, v32, 0x3                 // scaleToBpe: accumulate d0 lower and *= bpe into Cin addr
v_cndmask_b32 v38, -1, v38, s[58:59]               // LDC clip if OOB. offset
_buffer_load_b64 v[40:41], v38, s[sgprSrdC:sgprSrdC+3], 0, offen offset:0 // load C for beta calc
_v_add_lshl_u32 v38, v35, v32, 0x3                 // scaleToBpe: accumulate d0 lower and *= bpe into Cin addr
v_cndmask_b32 v38, -1, v38, s[58:59]               // LDD clip if OOB. offset
/* (d1,vc1,d0,vc0)=(3,1,0,0) */
_v_add_co_u32 v33, vcc, v33, 1                     // coord1.1: coord1Vgpr += d1*sg1*VW + vc1

/* Fix for UseInitialStridesCD, emitAddressSetupCode */
_v_add_u32 v34, v34, s[sgprStrideC1J]              // ROWINC- Move cinRowPtr to next row
_v_add_u32 v35, v35, s[sgprStrideD1J]              // Move coutRowPtr to next row
v_cmp_lt_u32 s[54:55], v32, s[sgprSizeI]           // coord0 < size0
v_cmp_lt_u32 s[58:59], v33, s[sgprSizeJ]           // coord1 < size1
s_and_b64 s[58:59], s[54:55], s[58:59]             // in0 && in1
_v_add_lshl_u32 v39, v34, v32, 0x3                 // scaleToBpe: accumulate d0 lower and *= bpe into Cin addr
v_cndmask_b32 v39, -1, v39, s[58:59]               // LDC clip if OOB. offset
_buffer_load_b64 v[44:45], v39, s[sgprSrdC:sgprSrdC+3], 0, offen offset:0 // load C for beta calc
_v_add_lshl_u32 v39, v35, v32, 0x3                 // scaleToBpe: accumulate d0 lower and *= bpe into Cin addr
v_cndmask_b32 v39, -1, v39, s[58:59]               // LDD clip if OOB. offset
/* (d1,vc1,d0,vc0)=(3,2,0,0) */
_v_add_co_u32 v33, vcc, v33, 1                     // coord1.1: coord1Vgpr += d1*sg1*VW + vc1

/* Fix for UseInitialStridesCD, emitAddressSetupCode */
_v_add_u32 v34, v34, s[sgprStrideC1J]              // ROWINC- Move cinRowPtr to next row
_v_add_u32 v35, v35, s[sgprStrideD1J]              // Move coutRowPtr to next row
	;; [unrolled: 14-line block ×3, first 2 shown]
v_cmp_lt_u32 s[54:55], v32, s[sgprSizeI]           // coord0 < size0
v_cmp_lt_u32 s[58:59], v33, s[sgprSizeJ]           // coord1 < size1
s_and_b64 s[58:59], s[54:55], s[58:59]             // in0 && in1
_v_add_lshl_u32 v49, v34, v32, 0x3                 // scaleToBpe: accumulate d0 lower and *= bpe into Cin addr
v_cndmask_b32 v49, -1, v49, s[58:59]               // LDC clip if OOB. offset
_buffer_load_b64 v[54:55], v49, s[sgprSrdC:sgprSrdC+3], 0, offen offset:0 // load C for beta calc
_v_add_lshl_u32 v49, v35, v32, 0x3                 // scaleToBpe: accumulate d0 lower and *= bpe into Cin addr
v_cndmask_b32 v49, -1, v49, s[58:59]               // LDD clip if OOB. offset

/* rC *= alpha batchElements=[(3, 0, 0, 0), (3, 0, 1, 0), (3, 0, 2, 0), (3, 0, 3, 0)] */
v_mul_f32 v36, s[sgprAlpha+0], v[vgprValuC+12] // 
v_mul_f32 v37, s[sgprAlpha+1], v[vgprValuC+12] // 
v_fma_f32 v[vgprValuC+42], s[sgprAlpha+1], -v[vgprValuC+28], v36
v_fma_f32 v[vgprValuC+42 +1], s[sgprAlpha+0], v[vgprValuC+28], v37
v_mul_f32 v36, s[sgprAlpha+0], v[vgprValuC+13] // 
v_mul_f32 v37, s[sgprAlpha+1], v[vgprValuC+13] // 
v_fma_f32 v[vgprValuC+46], s[sgprAlpha+1], -v[vgprValuC+29], v36
v_fma_f32 v[vgprValuC+46 +1], s[sgprAlpha+0], v[vgprValuC+29], v37
	;; [unrolled: 4-line block ×4, first 2 shown]
s_waitcnt vmcnt(0)                                 // wait C

/* apply mask, calc new C and issue writes */
_v_mac_f32 v[vgprValuC+42], v40, s[sgprBeta]       // finalSum Cr += old Cr * Br
_v_mac_f32 v[vgprValuC+42], v41, -s[sgprBeta+1]    // finalSum Cr += old Ci * -Bi
_v_mac_f32 v[vgprValuC+43], v41, s[sgprBeta]       // finalSum Ci += old Ci * Br
_v_mac_f32 v[vgprValuC+43], v40, s[sgprBeta+1]     // finalSum Ci += old Cr * Bi
_buffer_store_b64 v[42:43], v38, s[sgprSrdD:sgprSrdD+3], 0, offen, offset:0 // store D
_v_mac_f32 v[vgprValuC+46], v44, s[sgprBeta]       // finalSum Cr += old Cr * Br
_v_mac_f32 v[vgprValuC+46], v45, -s[sgprBeta+1]    // finalSum Cr += old Ci * -Bi
_v_mac_f32 v[vgprValuC+47], v45, s[sgprBeta]       // finalSum Ci += old Ci * Br
_v_mac_f32 v[vgprValuC+47], v44, s[sgprBeta+1]     // finalSum Ci += old Cr * Bi
_buffer_store_b64 v[46:47], v39, s[sgprSrdD:sgprSrdD+3], 0, offen, offset:0 // store D
	;; [unrolled: 5-line block ×4, first 2 shown]
s_nop 0                                            // 1 wait state required when next inst writes vgprs held by previous dwordx4 store inst
s_branch label_GW_End_44                           // jump to end
label_GW_End_44:

label_0049:  /// KernelEnd
s_endpgm                                           // Kernel End

